;; amdgpu-corpus repo=ROCm/rocFFT kind=compiled arch=gfx1201 opt=O3
	.text
	.amdgcn_target "amdgcn-amd-amdhsa--gfx1201"
	.amdhsa_code_object_version 6
	.protected	bluestein_single_back_len770_dim1_half_op_CI_CI ; -- Begin function bluestein_single_back_len770_dim1_half_op_CI_CI
	.globl	bluestein_single_back_len770_dim1_half_op_CI_CI
	.p2align	8
	.type	bluestein_single_back_len770_dim1_half_op_CI_CI,@function
bluestein_single_back_len770_dim1_half_op_CI_CI: ; @bluestein_single_back_len770_dim1_half_op_CI_CI
; %bb.0:
	s_load_b128 s[4:7], s[0:1], 0x28
	v_mul_u32_u24_e32 v1, 0x254, v0
	v_mov_b32_e32 v13, 0
	s_mov_b32 s2, exec_lo
	s_delay_alu instid0(VALU_DEP_2) | instskip(NEXT) | instid1(VALU_DEP_1)
	v_lshrrev_b32_e32 v1, 16, v1
	v_lshl_add_u32 v12, ttmp9, 1, v1
	s_wait_kmcnt 0x0
	s_delay_alu instid0(VALU_DEP_1)
	v_cmpx_gt_u64_e64 s[4:5], v[12:13]
	s_cbranch_execz .LBB0_23
; %bb.1:
	v_mul_lo_u16 v2, 0x6e, v1
	s_clause 0x1
	s_load_b64 s[10:11], s[0:1], 0x0
	s_load_b64 s[8:9], s[0:1], 0x38
	v_and_b32_e32 v1, 1, v1
	v_sub_nc_u16 v0, v0, v2
	s_delay_alu instid0(VALU_DEP_2) | instskip(NEXT) | instid1(VALU_DEP_2)
	v_cmp_eq_u32_e32 vcc_lo, 1, v1
	v_and_b32_e32 v28, 0xffff, v0
	v_cndmask_b32_e64 v19, 0, 0x302, vcc_lo
	v_cmp_gt_u16_e32 vcc_lo, 0x46, v0
	s_delay_alu instid0(VALU_DEP_3) | instskip(NEXT) | instid1(VALU_DEP_3)
	v_lshlrev_b32_e32 v27, 2, v28
	v_lshlrev_b32_e32 v30, 2, v19
	s_and_saveexec_b32 s3, vcc_lo
	s_cbranch_execz .LBB0_3
; %bb.2:
	s_load_b64 s[4:5], s[0:1], 0x18
	s_wait_kmcnt 0x0
	s_load_b128 s[12:15], s[4:5], 0x0
	s_wait_kmcnt 0x0
	v_mad_co_u64_u32 v[0:1], null, s14, v12, 0
	v_mad_co_u64_u32 v[2:3], null, s12, v28, 0
	s_mul_u64 s[4:5], s[12:13], 0x118
	s_delay_alu instid0(VALU_DEP_1) | instskip(NEXT) | instid1(VALU_DEP_1)
	v_mad_co_u64_u32 v[4:5], null, s15, v12, v[1:2]
	v_mad_co_u64_u32 v[5:6], null, s13, v28, v[3:4]
	v_mov_b32_e32 v1, v4
	s_delay_alu instid0(VALU_DEP_1) | instskip(NEXT) | instid1(VALU_DEP_3)
	v_lshlrev_b64_e32 v[0:1], 2, v[0:1]
	v_mov_b32_e32 v3, v5
	s_delay_alu instid0(VALU_DEP_2) | instskip(NEXT) | instid1(VALU_DEP_2)
	v_add_co_u32 v0, s2, s6, v0
	v_lshlrev_b64_e32 v[2:3], 2, v[2:3]
	s_delay_alu instid0(VALU_DEP_4) | instskip(NEXT) | instid1(VALU_DEP_2)
	v_add_co_ci_u32_e64 v1, s2, s7, v1, s2
	v_add_co_u32 v0, s2, v0, v2
	s_wait_alu 0xf1ff
	s_delay_alu instid0(VALU_DEP_2) | instskip(SKIP_1) | instid1(VALU_DEP_2)
	v_add_co_ci_u32_e64 v1, s2, v1, v3, s2
	s_wait_alu 0xfffe
	v_add_co_u32 v2, s2, v0, s4
	s_wait_alu 0xf1ff
	s_delay_alu instid0(VALU_DEP_2)
	v_add_co_ci_u32_e64 v3, s2, s5, v1, s2
	s_clause 0x7
	global_load_b32 v4, v27, s[10:11]
	global_load_b32 v5, v27, s[10:11] offset:280
	global_load_b32 v6, v27, s[10:11] offset:560
	;; [unrolled: 1-line block ×7, first 2 shown]
	global_load_b32 v13, v[0:1], off
	s_clause 0x1
	global_load_b32 v14, v27, s[10:11] offset:2240
	global_load_b32 v15, v27, s[10:11] offset:2520
	global_load_b32 v16, v[2:3], off
	v_add_co_u32 v0, s2, v2, s4
	s_wait_alu 0xf1ff
	v_add_co_ci_u32_e64 v1, s2, s5, v3, s2
	global_load_b32 v17, v27, s[10:11] offset:2800
	v_add_co_u32 v2, s2, v0, s4
	s_wait_alu 0xf1ff
	v_add_co_ci_u32_e64 v3, s2, s5, v1, s2
	global_load_b32 v18, v[0:1], off
	v_add_co_u32 v0, s2, v2, s4
	s_wait_alu 0xf1ff
	v_add_co_ci_u32_e64 v1, s2, s5, v3, s2
	s_clause 0x1
	global_load_b32 v20, v[2:3], off
	global_load_b32 v21, v[0:1], off
	v_add_co_u32 v0, s2, v0, s4
	s_wait_alu 0xf1ff
	v_add_co_ci_u32_e64 v1, s2, s5, v1, s2
	s_delay_alu instid0(VALU_DEP_2) | instskip(SKIP_1) | instid1(VALU_DEP_2)
	v_add_co_u32 v2, s2, v0, s4
	s_wait_alu 0xf1ff
	v_add_co_ci_u32_e64 v3, s2, s5, v1, s2
	global_load_b32 v22, v[0:1], off
	v_add_co_u32 v0, s2, v2, s4
	s_wait_alu 0xf1ff
	v_add_co_ci_u32_e64 v1, s2, s5, v3, s2
	global_load_b32 v23, v[2:3], off
	;; [unrolled: 4-line block ×5, first 2 shown]
	global_load_b32 v1, v[2:3], off
	v_lshl_add_u32 v3, v28, 2, v30
	v_add_nc_u32_e32 v2, v30, v27
	s_delay_alu instid0(VALU_DEP_1)
	v_add_nc_u32_e32 v26, 0x200, v2
	v_add_nc_u32_e32 v29, 0x400, v2
	;; [unrolled: 1-line block ×3, first 2 shown]
	s_wait_loadcnt 0x15
	v_lshrrev_b32_e32 v32, 16, v4
	s_wait_loadcnt 0x14
	v_lshrrev_b32_e32 v33, 16, v5
	;; [unrolled: 2-line block ×9, first 2 shown]
	v_mul_f16_e32 v42, v32, v13
	s_wait_loadcnt 0xc
	v_lshrrev_b32_e32 v41, 16, v14
	s_wait_loadcnt 0xa
	v_lshrrev_b32_e32 v44, 16, v16
	v_lshrrev_b32_e32 v43, 16, v15
	v_mul_f16_e32 v32, v32, v39
	v_fma_f16 v39, v4, v39, -v42
	v_mul_f16_e32 v42, v33, v16
	s_wait_loadcnt 0x9
	v_lshrrev_b32_e32 v45, 16, v17
	v_fmac_f16_e32 v32, v4, v13
	v_mul_f16_e32 v4, v33, v44
	v_fma_f16 v42, v5, v44, -v42
	s_wait_loadcnt 0x8
	v_lshrrev_b32_e32 v13, 16, v18
	v_mul_f16_e32 v33, v34, v18
	v_pack_b32_f16 v32, v32, v39
	v_fmac_f16_e32 v4, v5, v16
	s_delay_alu instid0(VALU_DEP_4)
	v_mul_f16_e32 v5, v34, v13
	s_wait_loadcnt 0x7
	v_lshrrev_b32_e32 v16, 16, v20
	v_fma_f16 v13, v6, v13, -v33
	v_mul_f16_e32 v33, v35, v20
	ds_store_b32 v3, v32
	v_pack_b32_f16 v3, v4, v42
	v_fmac_f16_e32 v5, v6, v18
	v_mul_f16_e32 v4, v35, v16
	s_wait_loadcnt 0x6
	v_lshrrev_b32_e32 v6, 16, v21
	v_fma_f16 v16, v7, v16, -v33
	v_mul_f16_e32 v18, v36, v21
	v_pack_b32_f16 v5, v5, v13
	v_fmac_f16_e32 v4, v7, v20
	v_mul_f16_e32 v7, v36, v6
	s_wait_loadcnt 0x5
	v_lshrrev_b32_e32 v13, 16, v22
	v_mul_f16_e32 v20, v37, v22
	v_fma_f16 v6, v8, v6, -v18
	v_pack_b32_f16 v4, v4, v16
	v_fmac_f16_e32 v7, v8, v21
	v_mul_f16_e32 v8, v37, v13
	s_wait_loadcnt 0x4
	v_lshrrev_b32_e32 v16, 16, v23
	v_fma_f16 v13, v9, v13, -v20
	v_mul_f16_e32 v18, v38, v23
	v_pack_b32_f16 v6, v7, v6
	v_fmac_f16_e32 v8, v9, v22
	s_wait_loadcnt 0x3
	v_lshrrev_b32_e32 v7, 16, v24
	v_mul_f16_e32 v9, v38, v16
	v_fma_f16 v16, v10, v16, -v18
	v_mul_f16_e32 v18, v40, v24
	v_pack_b32_f16 v8, v8, v13
	v_mul_f16_e32 v13, v40, v7
	v_fmac_f16_e32 v9, v10, v23
	s_wait_loadcnt 0x2
	v_lshrrev_b32_e32 v10, 16, v25
	v_fma_f16 v7, v11, v7, -v18
	v_mul_f16_e32 v18, v41, v25
	v_fmac_f16_e32 v13, v11, v24
	s_wait_loadcnt 0x1
	v_lshrrev_b32_e32 v11, 16, v0
	s_wait_loadcnt 0x0
	v_lshrrev_b32_e32 v21, 16, v1
	v_mul_f16_e32 v20, v41, v10
	v_fma_f16 v10, v14, v10, -v18
	v_mul_f16_e32 v18, v43, v0
	v_mul_f16_e32 v22, v43, v11
	;; [unrolled: 1-line block ×4, first 2 shown]
	v_fmac_f16_e32 v20, v14, v25
	v_fma_f16 v11, v15, v11, -v18
	v_fmac_f16_e32 v22, v15, v0
	v_fma_f16 v0, v17, v21, -v23
	v_fmac_f16_e32 v24, v17, v1
	v_pack_b32_f16 v1, v9, v16
	v_pack_b32_f16 v7, v13, v7
	;; [unrolled: 1-line block ×5, first 2 shown]
	v_add_nc_u32_e32 v11, 0x800, v2
	ds_store_2addr_b32 v2, v3, v5 offset0:70 offset1:140
	ds_store_2addr_b32 v26, v4, v6 offset0:82 offset1:152
	ds_store_2addr_b32 v29, v8, v1 offset0:94 offset1:164
	ds_store_2addr_b32 v31, v7, v9 offset0:106 offset1:176
	ds_store_2addr_b32 v11, v10, v0 offset0:118 offset1:188
.LBB0_3:
	s_or_b32 exec_lo, exec_lo, s3
	v_mov_b32_e32 v0, 0
	global_wb scope:SCOPE_SE
	s_wait_dscnt 0x0
	s_wait_kmcnt 0x0
	s_barrier_signal -1
	s_barrier_wait -1
	global_inv scope:SCOPE_SE
                                        ; implicit-def: $vgpr4
                                        ; implicit-def: $vgpr7
                                        ; implicit-def: $vgpr2
                                        ; implicit-def: $vgpr9
                                        ; implicit-def: $vgpr10
	s_and_saveexec_b32 s2, vcc_lo
	s_cbranch_execz .LBB0_5
; %bb.4:
	v_lshl_add_u32 v10, v19, 2, v27
	s_delay_alu instid0(VALU_DEP_1)
	v_add_nc_u32_e32 v2, 0x400, v10
	v_add_nc_u32_e32 v3, 0x800, v10
	ds_load_2addr_b32 v[0:1], v10 offset1:70
	ds_load_2addr_b32 v[8:9], v10 offset0:140 offset1:210
	ds_load_2addr_b32 v[6:7], v2 offset0:24 offset1:94
	;; [unrolled: 1-line block ×4, first 2 shown]
	ds_load_b32 v10, v10 offset:2800
.LBB0_5:
	s_wait_alu 0xfffe
	s_or_b32 exec_lo, exec_lo, s2
	s_wait_dscnt 0x0
	v_pk_add_f16 v11, v1, v10 neg_lo:[0,1] neg_hi:[0,1]
	v_pk_add_f16 v13, v10, v1
	v_pk_add_f16 v1, v1, v0
	v_pk_add_f16 v67, v6, v5 neg_lo:[0,1] neg_hi:[0,1]
	v_pk_add_f16 v71, v5, v6
	v_lshrrev_b32_e32 v14, 16, v11
	v_pk_add_f16 v29, v8, v3 neg_lo:[0,1] neg_hi:[0,1]
	v_pk_add_f16 v1, v8, v1
	v_pk_add_f16 v34, v3, v8
	v_lshrrev_b32_e32 v75, 16, v71
	v_mul_f16_e32 v8, 0xb482, v67
	v_lshrrev_b32_e32 v15, 16, v13
	v_pk_add_f16 v1, v9, v1
	v_mul_f16_e32 v16, 0xb853, v11
	v_mul_f16_e32 v18, 0xb853, v14
	v_lshrrev_b32_e32 v33, 16, v29
	v_fmamk_f16 v86, v75, 0xbbad, v8
	v_pk_add_f16 v1, v6, v1
	v_pk_add_f16 v6, v7, v4 neg_lo:[0,1] neg_hi:[0,1]
	v_fma_f16 v88, v75, 0xbbad, -v8
	v_mul_f16_e32 v17, 0xbbeb, v11
	v_fmamk_f16 v20, v15, 0x3abb, v16
	v_pk_add_f16 v1, v7, v1
	v_pk_add_f16 v7, v4, v7
	v_mul_f16_e32 v8, 0xb482, v6
	v_mul_f16_e32 v21, 0xbb47, v14
	v_mul_f16_e32 v22, 0xbbeb, v14
	v_pk_add_f16 v1, v4, v1
	v_lshrrev_b32_e32 v90, 16, v7
	v_fma_f16 v23, v13, 0x3abb, -v18
	v_mul_f16_e32 v14, 0xba0c, v14
	v_mul_f16_e32 v31, 0xba0c, v11
	v_pk_add_f16 v1, v5, v1
	v_mul_f16_e32 v36, 0xb482, v11
	v_mul_f16_e32 v37, 0xbb47, v33
	v_lshrrev_b32_e32 v38, 16, v34
	v_mul_f16_e32 v39, 0xbb47, v29
	v_pk_add_f16 v1, v2, v1
	v_pk_add_f16 v48, v9, v2 neg_lo:[0,1] neg_hi:[0,1]
	v_pk_add_f16 v52, v2, v9
	v_fmamk_f16 v92, v90, 0xbbad, v8
	v_fma_f16 v2, v90, 0xbbad, -v8
	v_pk_mul_f16 v8, 0xb482bb47, v11
	v_pk_add_f16 v1, v3, v1
	v_lshrrev_b32_e32 v3, 16, v0
	v_fma_f16 v16, v15, 0x3abb, -v16
	v_fmac_f16_e32 v18, 0x3abb, v13
	v_fma_f16 v24, v13, 0x36a6, -v21
	v_fmac_f16_e32 v21, 0x36a6, v13
	v_fma_f16 v25, v13, 0xb08e, -v22
	v_fmamk_f16 v26, v15, 0xb08e, v17
	v_fmac_f16_e32 v22, 0xb08e, v13
	v_fma_f16 v17, v15, 0xb08e, -v17
	v_fma_f16 v32, v13, 0xb93d, -v14
	v_fmamk_f16 v35, v15, 0xb93d, v31
	v_fmac_f16_e32 v14, 0xb93d, v13
	v_fma_f16 v31, v15, 0xb93d, -v31
	v_fmamk_f16 v40, v15, 0xbbad, v36
	v_fma_f16 v15, v15, 0xbbad, -v36
	v_fma_f16 v36, v34, 0x36a6, -v37
	v_fmamk_f16 v41, v38, 0x36a6, v39
	v_add_f16_e32 v23, v23, v0
	v_pk_fma_f16 v94, 0x36a6bbad, v13, v8 op_sel:[0,0,1] op_sel_hi:[1,1,0]
	v_pk_fma_f16 v13, 0x36a6bbad, v13, v8 op_sel:[0,0,1] op_sel_hi:[1,1,0] neg_lo:[0,0,1] neg_hi:[0,0,1]
	v_add_f16_e32 v8, v20, v3
	v_mul_f16_e32 v42, 0xba0c, v33
	v_fma_f16 v39, v38, 0x36a6, -v39
	v_add_f16_e32 v20, v36, v23
	v_mul_f16_e32 v44, 0x3482, v29
	v_add_f16_e32 v36, v41, v8
	v_add_f16_e32 v8, v16, v3
	v_fma_f16 v45, v34, 0xb93d, -v42
	v_fmac_f16_e32 v42, 0xb93d, v34
	v_lshrrev_b32_e32 v51, 16, v48
	v_add_f16_e32 v21, v21, v0
	v_add_f16_e32 v39, v39, v8
	v_mul_f16_e32 v8, 0x3b47, v6
	v_mul_f16_e32 v43, 0x3482, v33
	v_fmamk_f16 v47, v38, 0xbbad, v44
	v_mul_f16_e32 v33, 0x3beb, v33
	v_lshrrev_b32_e32 v56, 16, v52
	v_mul_f16_e32 v61, 0x3482, v51
	v_mul_f16_e32 v63, 0x3b47, v48
	v_lshrrev_b32_e32 v70, 16, v67
	v_add_f16_e32 v21, v42, v21
	v_fmamk_f16 v42, v90, 0x36a6, v8
	v_fma_f16 v96, v90, 0x36a6, -v8
	v_pk_add_f16 v8, v10, v1
	v_add_f16_e32 v10, v26, v3
	v_fmac_f16_e32 v37, 0x36a6, v34
	v_mul_f16_e32 v49, 0x3beb, v29
	v_fma_f16 v50, v34, 0xb08e, -v33
	v_fmac_f16_e32 v33, 0xb08e, v34
	v_mul_f16_e32 v54, 0x3853, v29
	v_mul_f16_e32 v55, 0xbbeb, v51
	v_mul_f16_e32 v57, 0xbbeb, v48
	v_mul_f16_e32 v62, 0x3b47, v51
	v_fma_f16 v64, v52, 0xbbad, -v61
	v_fmac_f16_e32 v61, 0xbbad, v52
	v_fmamk_f16 v66, v56, 0x36a6, v63
	v_mul_f16_e32 v51, 0xb853, v51
	v_mul_f16_e32 v80, 0x3beb, v70
	;; [unrolled: 1-line block ×3, first 2 shown]
	v_lshrrev_b32_e32 v87, 16, v6
	v_add_f16_e32 v18, v18, v0
	v_mul_f16_e32 v23, 0xba0c, v6
	v_add_f16_e32 v24, v24, v0
	v_add_f16_e32 v14, v14, v0
	v_pk_mul_f16 v29, 0x3853ba0c, v29
	v_add_f16_e32 v10, v47, v10
	v_fma_f16 v46, v34, 0xbbad, -v43
	v_fmac_f16_e32 v43, 0xbbad, v34
	v_fma_f16 v44, v38, 0xbbad, -v44
	v_fmamk_f16 v53, v38, 0xb08e, v49
	v_fma_f16 v49, v38, 0xb08e, -v49
	v_mul_f16_e32 v58, 0x3abb, v38
	v_fma_f16 v38, v38, 0x3abb, -v54
	v_fmamk_f16 v60, v56, 0xb08e, v57
	v_fma_f16 v57, v56, 0xb08e, -v57
	v_mul_f16_e32 v68, 0xb853, v48
	v_fma_f16 v69, v52, 0x3abb, -v51
	v_fmac_f16_e32 v51, 0x3abb, v52
	v_mul_f16_e32 v73, 0xba0c, v48
	v_fma_f16 v83, v71, 0xb08e, -v80
	v_fmac_f16_e32 v80, 0xb08e, v71
	v_fmamk_f16 v85, v75, 0x3abb, v82
	v_mul_f16_e32 v9, 0xb482, v70
	v_mul_f16_e32 v4, 0xb482, v87
	;; [unrolled: 1-line block ×4, first 2 shown]
	v_add_f16_e32 v18, v37, v18
	v_fmamk_f16 v37, v90, 0xb93d, v23
	v_mul_f16_e32 v16, 0x3b47, v87
	v_fma_f16 v87, v90, 0xb93d, -v23
	v_add_f16_e32 v23, v45, v24
	v_add_f16_e32 v1, v25, v0
	;; [unrolled: 1-line block ×6, first 2 shown]
	v_pk_add_f16 v13, v13, v0
	v_add_f16_e32 v15, v15, v3
	v_pk_mul_f16 v31, 0xb93d3abb, v34
	v_pk_fma_f16 v32, 0xb93d3abb, v34, v29 op_sel:[0,0,1] op_sel_hi:[1,1,0] neg_lo:[0,0,1] neg_hi:[0,0,1]
	v_add_f16_e32 v14, v33, v14
	v_pk_mul_f16 v35, 0xba0c3482, v48
	v_add_f16_e32 v21, v61, v21
	v_add_f16_e32 v10, v66, v10
	v_fma_f16 v63, v56, 0x36a6, -v63
	v_fmamk_f16 v72, v56, 0x3abb, v68
	v_mul_f16_e32 v74, 0xba0c, v70
	v_fma_f16 v68, v56, 0x3abb, -v68
	v_mul_f16_e32 v77, 0xb93d, v56
	v_fma_f16 v56, v56, 0xb93d, -v73
	;; [unrolled: 2-line block ×3, first 2 shown]
	v_fma_f16 v82, v71, 0xbbad, -v9
	v_fmac_f16_e32 v9, 0xbbad, v71
	v_mul_f16_e32 v89, 0x3b47, v67
	v_add_f16_e32 v22, v43, v22
	v_pk_add_f16 v13, v32, v13
	v_add_f16_e32 v15, v38, v15
	v_add_f16_e32 v32, v60, v36
	;; [unrolled: 1-line block ×3, first 2 shown]
	v_pk_mul_f16 v34, 0xbbadb93d, v52
	v_pk_fma_f16 v36, 0xbbadb93d, v52, v35 op_sel:[0,0,1] op_sel_hi:[1,1,0] neg_lo:[0,0,1] neg_hi:[0,0,1]
	v_add_f16_e32 v14, v51, v14
	v_pk_mul_f16 v38, 0x3b473beb, v67
	v_add_f16_e32 v39, v80, v21
	v_add_f16_e32 v43, v85, v10
	v_lshrrev_b32_e32 v10, 16, v31
	v_lshrrev_b32_e32 v21, 16, v94
	v_fma_f16 v59, v52, 0xb08e, -v55
	v_fmac_f16_e32 v55, 0xb08e, v52
	v_mul_f16_e32 v76, 0xba0c, v67
	v_fma_f16 v5, v75, 0x36a6, -v89
	v_add_f16_e32 v17, v17, v3
	v_add_f16_e32 v24, v50, v24
	v_pk_add_f16 v13, v36, v13
	v_add_f16_e32 v15, v56, v15
	v_pk_mul_f16 v36, 0xb08e36a6, v71
	v_add_f16_e32 v47, v9, v14
	v_pk_fma_f16 v9, 0xb08e36a6, v71, v38 op_sel:[0,0,1] op_sel_hi:[1,1,0] neg_lo:[0,0,1] neg_hi:[0,0,1]
	v_add_f16_e32 v10, v29, v10
	v_add_f16_e32 v3, v21, v3
	v_lshrrev_b32_e32 v14, 16, v34
	v_fma_f16 v78, v71, 0xb93d, -v74
	v_fmamk_f16 v79, v75, 0xb93d, v76
	v_fmac_f16_e32 v74, 0xb93d, v71
	v_fma_f16 v76, v75, 0xb93d, -v76
	v_add_f16_e32 v20, v59, v20
	v_add_f16_e32 v18, v55, v18
	;; [unrolled: 1-line block ×3, first 2 shown]
	v_pk_add_f16 v48, v9, v13
	v_add_f16_e32 v5, v5, v15
	v_add_f16_e32 v3, v10, v3
	;; [unrolled: 1-line block ×3, first 2 shown]
	v_lshrrev_b32_e32 v13, 16, v36
	v_pk_mul_f16 v15, 0x3abbb08e, v7
	v_fma_f16 v65, v52, 0x36a6, -v62
	v_fmac_f16_e32 v62, 0x36a6, v52
	v_mul_f16_e32 v91, 0x36a6, v75
	v_fma_f16 v75, v7, 0xbbad, -v4
	v_fmac_f16_e32 v4, 0xbbad, v7
	v_add_f16_e32 v1, v46, v1
	v_add_f16_e32 v20, v78, v20
	;; [unrolled: 1-line block ×5, first 2 shown]
	v_pk_mul_f16 v24, 0xbbeb3853, v6
	v_add_f16_e32 v3, v10, v3
	v_add_f16_e32 v10, v38, v13
	v_lshrrev_b32_e32 v13, 16, v15
	v_fma_f16 v84, v71, 0x3abb, -v81
	v_fmac_f16_e32 v81, 0x3abb, v71
	v_add_f16_e32 v23, v64, v23
	v_add_f16_e32 v1, v65, v1
	;; [unrolled: 1-line block ×8, first 2 shown]
	v_pack_b32_f16 v4, v54, v94
	v_perm_b32 v13, v0, v58, 0x5040100
	v_pack_b32_f16 v18, v40, v31
	v_perm_b32 v0, v29, v0, 0x7060302
	v_fma_f16 v11, v7, 0x3abb, -v93
	v_fma_f16 v41, v7, 0xb93d, -v95
	v_add_f16_e32 v17, v44, v17
	v_add_f16_e32 v23, v83, v23
	;; [unrolled: 1-line block ×5, first 2 shown]
	v_pk_add_f16 v2, v4, v13
	v_pk_add_f16 v0, v18, v0
	v_pack_b32_f16 v3, v73, v34
	v_bfi_b32 v4, 0xffff, v77, v35
	v_add_f16_e32 v25, v53, v25
	v_add_f16_e32 v26, v49, v26
	;; [unrolled: 1-line block ×4, first 2 shown]
	v_pk_add_f16 v0, v0, v2
	v_pk_add_f16 v1, v3, v4
	v_pack_b32_f16 v2, v89, v36
	v_bfi_b32 v3, 0xffff, v91, v38
	v_mul_f16_e32 v4, 0xbbeb, v6
	v_mul_f16_e32 v6, 0xb08e, v90
	v_add_f16_e32 v17, v63, v17
	v_add_f16_e32 v25, v72, v25
	;; [unrolled: 1-line block ×3, first 2 shown]
	v_pk_add_f16 v0, v1, v0
	v_pk_add_f16 v1, v2, v3
	v_pack_b32_f16 v2, v4, v15
	v_bfi_b32 v3, 0xffff, v6, v24
	v_fmac_f16_e32 v93, 0x3abb, v7
	v_fmac_f16_e32 v95, 0xb93d, v7
	v_fma_f16 v45, v7, 0x36a6, -v16
	v_fmac_f16_e32 v16, 0x36a6, v7
	v_add_f16_e32 v32, v79, v32
	v_add_f16_e32 v17, v70, v17
	;; [unrolled: 1-line block ×4, first 2 shown]
	v_pk_fma_f16 v7, 0x3abbb08e, v7, v24 op_sel:[0,0,1] op_sel_hi:[1,1,0] neg_lo:[0,0,1] neg_hi:[0,0,1]
	v_pk_add_f16 v0, v1, v0
	v_pk_add_f16 v1, v2, v3
	v_fma_f16 v2, v90, 0xb08e, -v4
	v_add_f16_e32 v21, v92, v32
	v_add_f16_e32 v14, v93, v39
	;; [unrolled: 1-line block ×9, first 2 shown]
	v_pk_add_f16 v16, v7, v48
	v_pk_add_f16 v48, v1, v0
	v_add_f16_e32 v47, v2, v5
	v_mul_lo_u16 v35, v28, 11
	global_wb scope:SCOPE_SE
	s_barrier_signal -1
	s_barrier_wait -1
	global_inv scope:SCOPE_SE
	s_and_saveexec_b32 s2, vcc_lo
	s_cbranch_execz .LBB0_7
; %bb.6:
	v_and_b32_e32 v0, 0xffff, v35
	v_perm_b32 v1, v21, v9, 0x5040100
	v_perm_b32 v2, v23, v11, 0x5040100
	;; [unrolled: 1-line block ×4, first 2 shown]
	v_add_lshl_u32 v0, v19, v0, 2
	v_perm_b32 v5, v48, v16, 0x5040100
	v_alignbit_b32 v6, v47, v48, 16
	v_perm_b32 v7, v24, v13, 0x5040100
	v_perm_b32 v17, v46, v18, 0x5040100
	;; [unrolled: 1-line block ×3, first 2 shown]
	v_bfi_b32 v26, 0xffff, v14, v16
	ds_store_2addr_b32 v0, v8, v1 offset1:1
	ds_store_2addr_b32 v0, v3, v2 offset0:2 offset1:3
	ds_store_b32 v0, v4 offset:16
	ds_store_2addr_b32 v0, v5, v6 offset0:5 offset1:6
	ds_store_2addr_b32 v0, v17, v7 offset0:7 offset1:8
	;; [unrolled: 1-line block ×3, first 2 shown]
.LBB0_7:
	s_wait_alu 0xfffe
	s_or_b32 exec_lo, exec_lo, s2
	s_clause 0x1
	s_load_b64 s[2:3], s[0:1], 0x20
	s_load_b64 s[4:5], s[0:1], 0x8
	v_cmp_gt_u16_e64 s0, 0x4d, v28
	v_lshrrev_b32_e32 v17, 16, v48
	v_add_lshl_u32 v31, v19, v28, 2
	global_wb scope:SCOPE_SE
	s_wait_dscnt 0x0
	s_wait_kmcnt 0x0
	s_barrier_signal -1
	s_barrier_wait -1
	global_inv scope:SCOPE_SE
	s_and_saveexec_b32 s1, s0
	s_cbranch_execz .LBB0_9
; %bb.8:
	v_add_nc_u32_e32 v0, 0x400, v31
	v_add_nc_u32_e32 v1, 0x600, v31
	;; [unrolled: 1-line block ×3, first 2 shown]
	ds_load_2addr_b32 v[8:9], v31 offset1:77
	ds_load_2addr_b32 v[10:11], v31 offset0:154 offset1:231
	ds_load_2addr_b32 v[15:16], v0 offset0:52 offset1:129
	;; [unrolled: 1-line block ×4, first 2 shown]
	s_wait_dscnt 0x4
	v_lshrrev_b32_e32 v21, 16, v9
	s_wait_dscnt 0x3
	v_lshrrev_b32_e32 v22, 16, v10
	v_lshrrev_b32_e32 v23, 16, v11
	s_wait_dscnt 0x2
	v_lshrrev_b32_e32 v33, 16, v15
	;; [unrolled: 3-line block ×4, first 2 shown]
	v_bfi_b32 v16, 0xffff, v16, v14
.LBB0_9:
	s_wait_alu 0xfffe
	s_or_b32 exec_lo, exec_lo, s1
	v_and_b32_e32 v0, 0xff, v28
	s_delay_alu instid0(VALU_DEP_2) | instskip(SKIP_1) | instid1(VALU_DEP_3)
	v_lshrrev_b32_e32 v52, 16, v16
	v_lshrrev_b32_e32 v49, 16, v8
	v_mul_lo_u16 v0, 0x75, v0
	s_delay_alu instid0(VALU_DEP_1) | instskip(NEXT) | instid1(VALU_DEP_1)
	v_lshrrev_b16 v0, 8, v0
	v_sub_nc_u16 v1, v28, v0
	s_delay_alu instid0(VALU_DEP_1) | instskip(NEXT) | instid1(VALU_DEP_1)
	v_lshrrev_b16 v1, 1, v1
	v_and_b32_e32 v1, 0x7f, v1
	s_delay_alu instid0(VALU_DEP_1) | instskip(NEXT) | instid1(VALU_DEP_1)
	v_add_nc_u16 v0, v1, v0
	v_lshrrev_b16 v83, 3, v0
	s_delay_alu instid0(VALU_DEP_1) | instskip(NEXT) | instid1(VALU_DEP_1)
	v_mul_lo_u16 v0, v83, 11
	v_sub_nc_u16 v0, v28, v0
	s_delay_alu instid0(VALU_DEP_1) | instskip(NEXT) | instid1(VALU_DEP_1)
	v_and_b32_e32 v32, 0xff, v0
	v_mad_co_u64_u32 v[25:26], null, v32, 36, s[4:5]
	s_clause 0x2
	global_load_b128 v[0:3], v[25:26], off
	global_load_b128 v[4:7], v[25:26], off offset:16
	global_load_b32 v34, v[25:26], off offset:32
	global_wb scope:SCOPE_SE
	s_wait_loadcnt 0x0
	s_barrier_signal -1
	s_barrier_wait -1
	global_inv scope:SCOPE_SE
	v_lshrrev_b32_e32 v37, 16, v0
	v_lshrrev_b32_e32 v43, 16, v1
	;; [unrolled: 1-line block ×9, first 2 shown]
	v_mul_f16_e32 v50, v9, v37
	v_mul_f16_e32 v54, v22, v43
	;; [unrolled: 1-line block ×18, first 2 shown]
	v_fmac_f16_e32 v50, v21, v0
	v_fma_f16 v56, v10, v1, -v54
	v_fmac_f16_e32 v60, v22, v1
	v_fma_f16 v54, v11, v2, -v55
	;; [unrolled: 2-line block ×7, first 2 shown]
	v_fma_f16 v13, v14, v34, -v66
	v_fmac_f16_e32 v25, v52, v34
	v_fma_f16 v9, v9, v0, -v53
	v_fmac_f16_e32 v45, v24, v7
	v_add_f16_e32 v14, v15, v10
	v_sub_f16_e32 v16, v56, v15
	v_sub_f16_e32 v17, v11, v10
	v_add_f16_e32 v18, v56, v11
	v_sub_f16_e32 v33, v15, v56
	v_sub_f16_e32 v48, v10, v11
	v_add_f16_e32 v52, v59, v58
	v_add_f16_e32 v68, v22, v21
	;; [unrolled: 1-line block ×3, first 2 shown]
	v_sub_f16_e32 v77, v22, v54
	v_sub_f16_e32 v80, v21, v13
	v_add_f16_e32 v81, v29, v26
	v_add_f16_e32 v85, v57, v25
	v_sub_f16_e32 v53, v60, v59
	v_sub_f16_e32 v55, v45, v58
	v_add_f16_e32 v61, v60, v45
	v_sub_f16_e32 v67, v57, v25
	v_sub_f16_e32 v66, v29, v26
	;; [unrolled: 1-line block ×6, first 2 shown]
	v_fma_f16 v64, -0.5, v14, v8
	v_add_f16_e32 v69, v16, v17
	v_fma_f16 v14, -0.5, v18, v8
	v_add_f16_e32 v16, v33, v48
	v_fma_f16 v75, -0.5, v52, v49
	v_fma_f16 v79, -0.5, v68, v9
	v_fma_f16 v18, -0.5, v76, v9
	v_add_f16_e32 v33, v77, v80
	v_fma_f16 v80, -0.5, v81, v50
	v_fma_f16 v52, -0.5, v85, v50
	v_sub_f16_e32 v47, v59, v58
	v_sub_f16_e32 v23, v15, v10
	;; [unrolled: 1-line block ×8, first 2 shown]
	v_add_f16_e32 v72, v53, v55
	v_fma_f16 v62, -0.5, v61, v49
	v_add_f16_e32 v78, v71, v73
	v_fmamk_f16 v55, v67, 0xbb9c, v79
	v_fmamk_f16 v71, v66, 0xbb9c, v18
	v_fmac_f16_e32 v18, 0x3b9c, v66
	v_fmamk_f16 v76, v74, 0x3b9c, v80
	v_fmamk_f16 v81, v70, 0x3b9c, v52
	v_fmac_f16_e32 v52, 0xbb9c, v70
	v_sub_f16_e32 v46, v60, v45
	v_sub_f16_e32 v24, v56, v11
	v_add_f16_e32 v17, v63, v65
	v_add_f16_e32 v77, v82, v84
	;; [unrolled: 1-line block ×3, first 2 shown]
	v_fmamk_f16 v48, v47, 0xbb9c, v14
	v_fmac_f16_e32 v14, 0x3b9c, v47
	v_fmamk_f16 v63, v23, 0x3b9c, v62
	v_fmac_f16_e32 v62, 0xbb9c, v23
	v_fmac_f16_e32 v55, 0xb8b4, v66
	;; [unrolled: 1-line block ×7, first 2 shown]
	v_fmamk_f16 v61, v46, 0xbb9c, v64
	v_fmamk_f16 v65, v24, 0x3b9c, v75
	v_fmac_f16_e32 v48, 0x38b4, v46
	v_fmac_f16_e32 v14, 0xb8b4, v46
	;; [unrolled: 1-line block ×16, first 2 shown]
	v_mul_f16_e32 v68, 0x3b9c, v81
	v_mul_f16_e32 v16, 0x34f2, v18
	;; [unrolled: 1-line block ×6, first 2 shown]
	v_fmac_f16_e32 v61, 0x34f2, v69
	v_fmac_f16_e32 v65, 0x34f2, v72
	;; [unrolled: 1-line block ×3, first 2 shown]
	v_fma_f16 v71, v52, 0x3b9c, -v16
	v_fma_f16 v76, v76, 0x38b4, -v17
	v_fmac_f16_e32 v73, 0x34f2, v81
	v_fma_f16 v81, v18, 0xbb9c, -v33
	v_fma_f16 v82, v55, 0xb8b4, -v53
	v_sub_f16_e32 v16, v48, v68
	v_sub_f16_e32 v17, v14, v71
	;; [unrolled: 1-line block ×6, first 2 shown]
	v_and_b32_e32 v33, 0xffff, v83
	s_and_saveexec_b32 s1, s0
	s_cbranch_execz .LBB0_11
; %bb.10:
	v_mul_f16_e32 v67, 0x3b9c, v67
	v_mul_f16_e32 v66, 0x38b4, v66
	;; [unrolled: 1-line block ×5, first 2 shown]
	v_add_f16_e32 v67, v79, v67
	v_mul_f16_e32 v70, 0x38b4, v70
	v_sub_f16_e32 v74, v80, v74
	v_mul_f16_e32 v46, 0x3b9c, v46
	v_mul_f16_e32 v23, 0x38b4, v23
	v_add_f16_e32 v66, v66, v67
	v_mul_f16_e32 v67, 0x34f2, v77
	v_sub_f16_e32 v24, v75, v24
	v_sub_f16_e32 v70, v74, v70
	v_add_f16_e32 v49, v49, v60
	v_add_f16_e32 v66, v78, v66
	;; [unrolled: 1-line block ×5, first 2 shown]
	v_mul_f16_e32 v47, 0x38b4, v47
	v_sub_f16_e32 v23, v24, v23
	v_add_f16_e32 v24, v67, v70
	v_mul_f16_e32 v67, 0x38b4, v66
	v_add_f16_e32 v49, v49, v59
	v_add_f16_e32 v29, v50, v29
	;; [unrolled: 1-line block ×5, first 2 shown]
	v_mul_f16_e32 v60, 0x34f2, v72
	v_mul_f16_e32 v59, 0x34f2, v69
	v_fma_f16 v57, v24, 0x3a79, -v67
	v_add_f16_e32 v49, v49, v58
	v_add_f16_e32 v15, v29, v26
	;; [unrolled: 1-line block ×3, first 2 shown]
	v_mul_f16_e32 v24, 0x38b4, v24
	v_add_f16_e32 v8, v8, v10
	v_add_f16_e32 v9, v9, v21
	;; [unrolled: 1-line block ×6, first 2 shown]
	v_fmac_f16_e32 v24, 0x3a79, v66
	v_add_f16_e32 v8, v8, v11
	v_add_f16_e32 v9, v9, v13
	v_mul_u32_u24_e32 v29, 0x6e, v33
	v_sub_f16_e32 v11, v23, v57
	v_sub_f16_e32 v13, v45, v10
	v_add_f16_e32 v23, v23, v57
	v_sub_f16_e32 v22, v8, v9
	v_add_f16_e32 v10, v45, v10
	v_add_nc_u32_e32 v29, v29, v32
	v_add_f16_e32 v8, v8, v9
	v_add_f16_e32 v9, v15, v24
	v_sub_f16_e32 v21, v15, v24
	v_add_f16_e32 v26, v62, v81
	v_add_f16_e32 v46, v63, v73
	;; [unrolled: 1-line block ×6, first 2 shown]
	v_add_lshl_u32 v19, v19, v29, 2
	v_pack_b32_f16 v8, v8, v10
	v_pack_b32_f16 v9, v9, v23
	;; [unrolled: 1-line block ×7, first 2 shown]
	v_perm_b32 v21, v52, v16, 0x5040100
	v_perm_b32 v22, v53, v17, 0x5040100
	;; [unrolled: 1-line block ×3, first 2 shown]
	ds_store_2addr_b32 v19, v8, v9 offset1:11
	ds_store_2addr_b32 v19, v10, v14 offset0:22 offset1:33
	ds_store_2addr_b32 v19, v15, v13 offset0:44 offset1:55
	;; [unrolled: 1-line block ×4, first 2 shown]
.LBB0_11:
	s_wait_alu 0xfffe
	s_or_b32 exec_lo, exec_lo, s1
	v_mad_co_u64_u32 v[13:14], null, v28, 24, s[4:5]
	s_load_b128 s[4:7], s[2:3], 0x0
	global_wb scope:SCOPE_SE
	s_wait_dscnt 0x0
	s_wait_kmcnt 0x0
	s_barrier_signal -1
	s_barrier_wait -1
	global_inv scope:SCOPE_SE
	v_add_nc_u32_e32 v15, 0x200, v31
	s_clause 0x1
	global_load_b128 v[8:11], v[13:14], off offset:396
	global_load_b64 v[13:14], v[13:14], off offset:412
	v_add_nc_u32_e32 v19, 0x600, v31
	ds_load_2addr_b32 v[21:22], v31 offset1:110
	ds_load_b32 v54, v31 offset:2640
	ds_load_2addr_b32 v[23:24], v15 offset0:92 offset1:202
	ds_load_2addr_b32 v[25:26], v19 offset0:56 offset1:166
	v_lshl_add_u32 v29, v28, 2, v30
	s_delay_alu instid0(VALU_DEP_1)
	v_add_nc_u32_e32 v60, 0x200, v29
	v_add_nc_u32_e32 v61, 0x600, v29
	s_wait_dscnt 0x2
	v_lshrrev_b32_e32 v56, 16, v54
	v_lshrrev_b32_e32 v19, 16, v22
	s_wait_dscnt 0x1
	v_lshrrev_b32_e32 v57, 16, v23
	v_lshrrev_b32_e32 v58, 16, v24
	;; [unrolled: 3-line block ×3, first 2 shown]
	v_lshrrev_b32_e32 v15, 16, v21
	s_wait_loadcnt 0x1
	v_lshrrev_b32_e32 v50, 16, v8
	v_lshrrev_b32_e32 v48, 16, v9
	;; [unrolled: 1-line block ×4, first 2 shown]
	s_wait_loadcnt 0x0
	v_lshrrev_b32_e32 v45, 16, v13
	v_lshrrev_b32_e32 v49, 16, v14
	v_mul_f16_e32 v63, v19, v50
	v_mul_f16_e32 v64, v22, v50
	;; [unrolled: 1-line block ×12, first 2 shown]
	v_fma_f16 v22, v22, v8, -v63
	v_fmac_f16_e32 v64, v19, v8
	v_fma_f16 v19, v23, v9, -v65
	v_fmac_f16_e32 v66, v57, v9
	v_fma_f16 v23, v24, v10, -v67
	v_fma_f16 v24, v25, v11, -v69
	v_fma_f16 v25, v54, v14, -v73
	v_fmac_f16_e32 v74, v56, v14
	v_fma_f16 v26, v26, v13, -v71
	v_fmac_f16_e32 v72, v62, v13
	v_fmac_f16_e32 v68, v58, v10
	;; [unrolled: 1-line block ×3, first 2 shown]
	v_add_f16_e32 v54, v22, v25
	v_add_f16_e32 v56, v64, v74
	;; [unrolled: 1-line block ×4, first 2 shown]
	v_sub_f16_e32 v22, v22, v25
	v_sub_f16_e32 v25, v64, v74
	;; [unrolled: 1-line block ×4, first 2 shown]
	v_add_f16_e32 v59, v23, v24
	v_add_f16_e32 v62, v68, v70
	v_sub_f16_e32 v23, v24, v23
	v_sub_f16_e32 v24, v70, v68
	v_add_f16_e32 v63, v57, v54
	v_add_f16_e32 v64, v58, v56
	v_sub_f16_e32 v65, v57, v54
	v_sub_f16_e32 v66, v58, v56
	;; [unrolled: 1-line block ×6, first 2 shown]
	v_add_f16_e32 v67, v23, v19
	v_add_f16_e32 v68, v24, v26
	v_sub_f16_e32 v69, v23, v19
	v_sub_f16_e32 v70, v24, v26
	;; [unrolled: 1-line block ×3, first 2 shown]
	v_add_f16_e32 v59, v59, v63
	v_add_f16_e32 v62, v62, v64
	v_sub_f16_e32 v26, v26, v25
	v_sub_f16_e32 v23, v22, v23
	;; [unrolled: 1-line block ×3, first 2 shown]
	v_add_f16_e32 v22, v67, v22
	v_add_f16_e32 v25, v68, v25
	v_mul_f16_e32 v63, 0x3a52, v54
	v_mul_f16_e32 v56, 0x3a52, v56
	;; [unrolled: 1-line block ×7, first 2 shown]
	v_add_f16_e32 v21, v21, v59
	v_add_f16_e32 v54, v15, v62
	v_mul_f16_e32 v71, 0x3b00, v26
	v_fmamk_f16 v15, v57, 0x2b26, v63
	v_fmamk_f16 v57, v58, 0x2b26, v56
	v_fma_f16 v58, v65, 0x39e0, -v64
	v_fma_f16 v64, v66, 0x39e0, -v67
	;; [unrolled: 1-line block ×4, first 2 shown]
	v_fmamk_f16 v65, v23, 0x3574, v68
	v_fmamk_f16 v66, v24, 0x3574, v69
	v_fma_f16 v67, v19, 0x3b00, -v68
	v_fma_f16 v68, v26, 0x3b00, -v69
	;; [unrolled: 1-line block ×3, first 2 shown]
	v_fmamk_f16 v19, v59, 0xbcab, v21
	v_fmamk_f16 v23, v62, 0xbcab, v54
	v_fma_f16 v24, v24, 0xb574, -v71
	v_fmac_f16_e32 v65, 0x370e, v22
	v_fmac_f16_e32 v66, 0x370e, v25
	v_add_f16_e32 v15, v15, v19
	v_add_f16_e32 v57, v57, v23
	v_fmac_f16_e32 v67, 0x370e, v22
	v_fmac_f16_e32 v68, 0x370e, v25
	;; [unrolled: 1-line block ×4, first 2 shown]
	v_add_f16_e32 v58, v58, v19
	v_add_f16_e32 v63, v63, v19
	;; [unrolled: 1-line block ×5, first 2 shown]
	v_sub_f16_e32 v19, v57, v65
	v_add_f16_e32 v25, v24, v63
	v_sub_f16_e32 v64, v56, v69
	v_sub_f16_e32 v26, v58, v68
	v_add_f16_e32 v59, v67, v70
	v_add_f16_e32 v23, v68, v58
	v_sub_f16_e32 v58, v70, v67
	v_sub_f16_e32 v24, v63, v24
	v_add_f16_e32 v56, v69, v56
	v_sub_f16_e32 v15, v15, v66
	v_add_f16_e32 v57, v65, v57
	v_pack_b32_f16 v62, v21, v54
	v_pack_b32_f16 v63, v22, v19
	;; [unrolled: 1-line block ×7, first 2 shown]
	ds_store_2addr_b32 v29, v62, v63 offset1:110
	ds_store_2addr_b32 v60, v65, v66 offset0:92 offset1:202
	ds_store_2addr_b32 v61, v67, v68 offset0:56 offset1:166
	ds_store_b32 v29, v69 offset:2640
	global_wb scope:SCOPE_SE
	s_wait_dscnt 0x0
	s_barrier_signal -1
	s_barrier_wait -1
	global_inv scope:SCOPE_SE
	s_and_saveexec_b32 s1, vcc_lo
	s_cbranch_execz .LBB0_13
; %bb.12:
	s_add_nc_u64 s[2:3], s[10:11], 0xc08
	s_clause 0xa
	global_load_b32 v71, v27, s[10:11] offset:3080
	global_load_b32 v72, v27, s[2:3] offset:280
	;; [unrolled: 1-line block ×11, first 2 shown]
	ds_load_2addr_b32 v[60:61], v29 offset1:70
	v_add_nc_u32_e32 v82, 0x400, v29
	ds_load_2addr_b32 v[62:63], v29 offset0:140 offset1:210
	v_add_nc_u32_e32 v83, 0x800, v29
	ds_load_b32 v84, v29 offset:2800
	ds_load_2addr_b32 v[65:66], v82 offset0:24 offset1:94
	ds_load_2addr_b32 v[67:68], v82 offset0:164 offset1:234
	;; [unrolled: 1-line block ×3, first 2 shown]
	s_wait_dscnt 0x5
	v_lshrrev_b32_e32 v85, 16, v60
	v_lshrrev_b32_e32 v86, 16, v61
	s_wait_dscnt 0x4
	v_lshrrev_b32_e32 v87, 16, v62
	v_lshrrev_b32_e32 v88, 16, v63
	;; [unrolled: 3-line block ×5, first 2 shown]
	v_lshrrev_b32_e32 v89, 16, v84
	s_wait_loadcnt 0xa
	v_lshrrev_b32_e32 v96, 16, v71
	s_wait_loadcnt 0x9
	;; [unrolled: 2-line block ×11, first 2 shown]
	v_lshrrev_b32_e32 v106, 16, v81
	v_mul_f16_e32 v107, v85, v96
	v_mul_f16_e32 v96, v60, v96
	;; [unrolled: 1-line block ×22, first 2 shown]
	v_fma_f16 v60, v60, v71, -v107
	v_fmac_f16_e32 v96, v85, v71
	v_fma_f16 v61, v61, v72, -v108
	v_fmac_f16_e32 v97, v86, v72
	;; [unrolled: 2-line block ×11, first 2 shown]
	v_pack_b32_f16 v60, v60, v96
	v_pack_b32_f16 v61, v61, v97
	;; [unrolled: 1-line block ×11, first 2 shown]
	ds_store_2addr_b32 v29, v60, v61 offset1:70
	ds_store_2addr_b32 v29, v62, v63 offset0:140 offset1:210
	ds_store_2addr_b32 v82, v65, v66 offset0:24 offset1:94
	;; [unrolled: 1-line block ×4, first 2 shown]
	ds_store_b32 v29, v71 offset:2800
.LBB0_13:
	s_wait_alu 0xfffe
	s_or_b32 exec_lo, exec_lo, s1
	global_wb scope:SCOPE_SE
	s_wait_dscnt 0x0
	s_barrier_signal -1
	s_barrier_wait -1
	global_inv scope:SCOPE_SE
	s_and_saveexec_b32 s1, vcc_lo
	s_cbranch_execz .LBB0_15
; %bb.14:
	v_add_nc_u32_e32 v15, 0x400, v29
	v_add_nc_u32_e32 v17, 0x800, v29
	ds_load_2addr_b32 v[21:22], v29 offset1:70
	ds_load_2addr_b32 v[25:26], v29 offset0:140 offset1:210
	ds_load_2addr_b32 v[23:24], v15 offset0:24 offset1:94
	;; [unrolled: 1-line block ×4, first 2 shown]
	ds_load_b32 v20, v29 offset:2800
	s_wait_dscnt 0x5
	v_lshrrev_b32_e32 v54, 16, v21
	v_lshrrev_b32_e32 v19, 16, v22
	s_wait_dscnt 0x4
	v_lshrrev_b32_e32 v64, 16, v25
	v_lshrrev_b32_e32 v59, 16, v26
	;; [unrolled: 3-line block ×5, first 2 shown]
	s_wait_dscnt 0x0
	v_lshrrev_b32_e32 v51, 16, v20
.LBB0_15:
	s_wait_alu 0xfffe
	s_or_b32 exec_lo, exec_lo, s1
	v_add_f16_e32 v60, v22, v21
	v_add_f16_e32 v62, v19, v54
	v_sub_f16_e32 v65, v19, v51
	v_add_f16_e32 v63, v51, v19
	v_add_f16_e32 v61, v20, v22
	;; [unrolled: 1-line block ×4, first 2 shown]
	v_sub_f16_e32 v22, v22, v20
	v_mul_f16_e32 v69, 0xbbeb, v65
	v_mul_f16_e32 v70, 0xb08e, v63
	v_add_f16_e32 v19, v26, v66
	v_add_f16_e32 v66, v59, v62
	v_mul_f16_e32 v71, 0xba0c, v65
	v_fmamk_f16 v76, v61, 0xb08e, v69
	v_fmamk_f16 v77, v22, 0x3beb, v70
	v_add_f16_e32 v19, v23, v19
	v_add_f16_e32 v66, v58, v66
	v_mul_f16_e32 v60, 0xb853, v65
	v_mul_f16_e32 v62, 0xb853, v22
	;; [unrolled: 1-line block ×3, first 2 shown]
	v_add_f16_e32 v19, v24, v19
	v_add_f16_e32 v66, v56, v66
	v_mul_f16_e32 v65, 0xb482, v65
	v_sub_f16_e32 v83, v64, v55
	v_sub_f16_e32 v84, v25, v18
	v_add_f16_e32 v19, v15, v19
	v_add_f16_e32 v66, v57, v66
	v_mul_f16_e32 v68, 0x36a6, v63
	v_fmamk_f16 v72, v61, 0x3abb, v60
	v_fma_f16 v73, v63, 0x3abb, -v62
	v_add_f16_e32 v19, v16, v19
	v_add_f16_e32 v66, v52, v66
	v_mul_f16_e32 v79, 0xbbad, v63
	v_fmamk_f16 v80, v61, 0xbbad, v65
	v_fma_f16 v85, v61, 0xbbad, -v65
	v_add_f16_e32 v19, v17, v19
	v_add_f16_e32 v66, v53, v66
	;; [unrolled: 1-line block ×3, first 2 shown]
	v_fmamk_f16 v74, v61, 0x36a6, v67
	v_fmamk_f16 v75, v22, 0x3b47, v68
	v_add_f16_e32 v19, v18, v19
	v_add_f16_e32 v66, v55, v66
	v_fma_f16 v67, v61, 0x36a6, -v67
	v_fmac_f16_e32 v68, 0xbb47, v22
	v_add_f16_e32 v72, v21, v72
	v_add_f16_e32 v19, v20, v19
	;; [unrolled: 1-line block ×4, first 2 shown]
	v_fmamk_f16 v66, v61, 0xb93d, v71
	v_add_f16_e32 v76, v54, v77
	v_mul_f16_e32 v77, 0xb93d, v63
	v_add_f16_e32 v73, v54, v73
	v_fmac_f16_e32 v70, 0xbbeb, v22
	v_add_f16_e32 v78, v21, v66
	v_fmamk_f16 v81, v22, 0x3482, v79
	v_fmamk_f16 v66, v22, 0x3a0c, v77
	v_fmac_f16_e32 v77, 0xba0c, v22
	v_add_f16_e32 v18, v21, v85
	v_mul_f16_e32 v25, 0xba0c, v83
	v_fmac_f16_e32 v79, 0xb482, v22
	v_add_f16_e32 v82, v54, v66
	v_add_f16_e32 v66, v55, v64
	v_mul_f16_e32 v55, 0xbb47, v83
	v_mul_f16_e32 v64, 0xbb47, v84
	v_add_f16_e32 v75, v54, v75
	v_add_f16_e32 v67, v21, v67
	v_mul_f16_e32 v86, 0xb93d, v66
	v_fmamk_f16 v22, v65, 0x36a6, v55
	v_fma_f16 v85, v66, 0x36a6, -v64
	v_add_f16_e32 v68, v54, v68
	v_fmamk_f16 v87, v65, 0xb93d, v25
	v_fma_f16 v25, v65, 0xb93d, -v25
	v_add_f16_e32 v22, v22, v72
	v_add_f16_e32 v72, v85, v73
	v_fmamk_f16 v73, v84, 0x3a0c, v86
	v_mul_f16_e32 v85, 0x3482, v83
	v_fmac_f16_e32 v86, 0xba0c, v84
	v_fma_f16 v69, v61, 0xb08e, -v69
	v_add_f16_e32 v74, v21, v74
	v_add_f16_e32 v73, v73, v75
	v_mul_f16_e32 v75, 0xbbad, v66
	v_add_f16_e32 v25, v25, v67
	v_fmamk_f16 v67, v65, 0xbbad, v85
	v_add_f16_e32 v86, v86, v68
	v_mul_f16_e32 v68, 0x3beb, v83
	v_add_f16_e32 v69, v21, v69
	v_add_f16_e32 v70, v54, v70
	;; [unrolled: 1-line block ×3, first 2 shown]
	v_fmamk_f16 v87, v84, 0xb482, v75
	v_fma_f16 v85, v65, 0xbbad, -v85
	v_add_f16_e32 v20, v67, v20
	v_fmac_f16_e32 v75, 0x3482, v84
	v_fmamk_f16 v67, v65, 0xb08e, v68
	v_fma_f16 v71, v61, 0xb93d, -v71
	v_add_f16_e32 v85, v85, v69
	v_mul_f16_e32 v69, 0xb08e, v66
	v_add_f16_e32 v70, v75, v70
	v_add_f16_e32 v75, v67, v78
	v_mul_f16_e32 v67, 0x3853, v83
	v_add_f16_e32 v80, v21, v80
	v_add_f16_e32 v76, v87, v76
	v_mul_f16_e32 v78, 0x3abb, v66
	v_fmamk_f16 v83, v84, 0xbbeb, v69
	v_fmamk_f16 v87, v65, 0x3abb, v67
	v_add_f16_e32 v71, v21, v71
	v_add_f16_e32 v77, v54, v77
	;; [unrolled: 1-line block ×3, first 2 shown]
	v_fma_f16 v68, v65, 0xb08e, -v68
	v_fmac_f16_e32 v69, 0x3beb, v84
	v_fmamk_f16 v88, v84, 0xb853, v78
	v_add_f16_e32 v82, v83, v82
	v_add_f16_e32 v80, v87, v80
	v_sub_f16_e32 v83, v59, v53
	v_sub_f16_e32 v87, v26, v17
	v_add_f16_e32 v71, v68, v71
	v_add_f16_e32 v77, v69, v77
	;; [unrolled: 1-line block ×3, first 2 shown]
	v_fma_f16 v88, v65, 0x3abb, -v67
	v_add_f16_e32 v69, v17, v26
	v_add_f16_e32 v68, v53, v59
	v_mul_f16_e32 v59, 0xbbeb, v83
	v_mul_f16_e32 v67, 0xbbeb, v87
	v_add_f16_e32 v17, v88, v18
	v_mul_f16_e32 v18, 0x3482, v83
	v_fmac_f16_e32 v78, 0x3853, v84
	v_fmamk_f16 v26, v69, 0xb08e, v59
	v_fma_f16 v53, v68, 0xb08e, -v67
	v_mul_f16_e32 v84, 0xbbad, v68
	v_add_f16_e32 v79, v54, v79
	v_fmamk_f16 v88, v69, 0xbbad, v18
	v_add_f16_e32 v22, v26, v22
	v_add_f16_e32 v26, v53, v72
	v_fmamk_f16 v53, v87, 0xb482, v84
	v_fma_f16 v18, v69, 0xbbad, -v18
	v_mul_f16_e32 v72, 0x3b47, v83
	v_add_f16_e32 v78, v78, v79
	v_add_f16_e32 v79, v88, v74
	v_fmac_f16_e32 v84, 0x3482, v87
	v_add_f16_e32 v53, v53, v73
	v_mul_f16_e32 v73, 0x36a6, v68
	v_add_f16_e32 v18, v18, v25
	v_fmamk_f16 v25, v69, 0x36a6, v72
	v_mul_f16_e32 v74, 0xb853, v83
	v_add_f16_e32 v84, v84, v86
	v_fmamk_f16 v86, v87, 0xbb47, v73
	v_fmac_f16_e32 v73, 0x3b47, v87
	v_add_f16_e32 v20, v25, v20
	v_fmamk_f16 v25, v69, 0x3abb, v74
	v_fma_f16 v72, v69, 0x36a6, -v72
	v_add_f16_e32 v86, v86, v76
	v_add_f16_e32 v70, v73, v70
	v_mul_f16_e32 v73, 0xba0c, v83
	v_add_f16_e32 v25, v25, v75
	v_mul_f16_e32 v75, 0xb93d, v68
	;; [unrolled: 2-line block ×3, first 2 shown]
	v_fmamk_f16 v83, v69, 0xb93d, v73
	v_fma_f16 v74, v69, 0x3abb, -v74
	v_fmamk_f16 v88, v87, 0x3a0c, v75
	v_fma_f16 v89, v69, 0xb93d, -v73
	v_fmamk_f16 v76, v87, 0x3853, v72
	v_fmac_f16_e32 v72, 0xb853, v87
	v_add_f16_e32 v80, v83, v80
	v_add_f16_e32 v81, v88, v81
	v_sub_f16_e32 v83, v58, v52
	v_sub_f16_e32 v88, v23, v16
	v_add_f16_e32 v82, v76, v82
	v_add_f16_e32 v71, v74, v71
	;; [unrolled: 1-line block ×5, first 2 shown]
	v_mul_f16_e32 v72, 0xba0c, v83
	v_mul_f16_e32 v74, 0xba0c, v88
	v_add_f16_e32 v16, v89, v17
	v_mul_f16_e32 v17, 0x3beb, v83
	v_mul_f16_e32 v58, 0xb08e, v76
	v_fmamk_f16 v23, v73, 0xb93d, v72
	v_fma_f16 v52, v76, 0xb93d, -v74
	v_fmac_f16_e32 v75, 0xba0c, v87
	v_fmamk_f16 v87, v73, 0xb08e, v17
	v_fma_f16 v17, v73, 0xb08e, -v17
	v_add_f16_e32 v22, v23, v22
	v_add_f16_e32 v23, v52, v26
	v_fmamk_f16 v26, v88, 0xbbeb, v58
	v_add_f16_e32 v75, v75, v78
	v_mul_f16_e32 v78, 0xb853, v83
	v_fmac_f16_e32 v58, 0x3beb, v88
	v_add_f16_e32 v52, v87, v79
	v_add_f16_e32 v53, v26, v53
	v_mul_f16_e32 v26, 0x3abb, v76
	v_add_f16_e32 v17, v17, v18
	v_fmamk_f16 v18, v73, 0x3abb, v78
	v_add_f16_e32 v84, v58, v84
	v_mul_f16_e32 v58, 0xb482, v83
	v_fmamk_f16 v79, v88, 0x3853, v26
	v_fmac_f16_e32 v26, 0xb853, v88
	v_add_f16_e32 v87, v18, v20
	v_fma_f16 v78, v73, 0x3abb, -v78
	v_fmamk_f16 v18, v73, 0xbbad, v58
	v_mul_f16_e32 v20, 0xbbad, v76
	v_add_f16_e32 v70, v26, v70
	v_mul_f16_e32 v26, 0x36a6, v76
	v_add_f16_e32 v85, v78, v85
	v_add_f16_e32 v25, v18, v25
	v_mul_f16_e32 v18, 0x3b47, v83
	v_fmamk_f16 v78, v88, 0x3482, v20
	v_fmamk_f16 v83, v88, 0xbb47, v26
	v_fmac_f16_e32 v20, 0xb482, v88
	v_add_f16_e32 v86, v79, v86
	v_fmamk_f16 v79, v73, 0x36a6, v18
	v_add_f16_e32 v82, v78, v82
	v_add_f16_e32 v81, v83, v81
	v_sub_f16_e32 v83, v56, v57
	v_add_f16_e32 v90, v20, v77
	v_sub_f16_e32 v92, v24, v15
	v_add_f16_e32 v78, v15, v24
	v_add_f16_e32 v91, v79, v80
	v_mul_f16_e32 v77, 0xb482, v83
	v_fma_f16 v18, v73, 0x36a6, -v18
	v_add_f16_e32 v80, v57, v56
	v_mul_f16_e32 v79, 0xb482, v92
	v_fmac_f16_e32 v26, 0x3b47, v88
	v_fmamk_f16 v15, v78, 0xbbad, v77
	v_mul_f16_e32 v24, 0x3853, v83
	v_add_f16_e32 v88, v18, v16
	v_fma_f16 v16, v80, 0xbbad, -v79
	v_mul_f16_e32 v56, 0x3abb, v80
	v_add_f16_e32 v20, v15, v22
	v_mul_f16_e32 v22, 0xba0c, v83
	v_fma_f16 v58, v73, 0xbbad, -v58
	v_add_f16_e32 v75, v26, v75
	v_fmamk_f16 v18, v78, 0x3abb, v24
	v_add_f16_e32 v26, v16, v23
	v_fmamk_f16 v16, v92, 0xb853, v56
	v_fmamk_f16 v23, v78, 0xb93d, v22
	v_add_f16_e32 v89, v58, v71
	v_add_f16_e32 v15, v18, v52
	v_fma_f16 v18, v78, 0x3abb, -v24
	v_fmac_f16_e32 v56, 0x3853, v92
	v_mul_f16_e32 v24, 0xb93d, v80
	v_add_f16_e32 v58, v16, v53
	v_add_f16_e32 v16, v23, v87
	v_mul_f16_e32 v23, 0x3b47, v83
	v_add_f16_e32 v18, v18, v17
	v_add_f16_e32 v52, v56, v84
	v_fmamk_f16 v17, v92, 0x3a0c, v24
	v_fma_f16 v22, v78, 0xb93d, -v22
	v_fmac_f16_e32 v24, 0xba0c, v92
	v_mul_f16_e32 v56, 0x36a6, v80
	v_fmamk_f16 v57, v78, 0x36a6, v23
	v_add_f16_e32 v53, v17, v86
	v_add_f16_e32 v17, v22, v85
	;; [unrolled: 1-line block ×3, first 2 shown]
	v_fmamk_f16 v24, v92, 0xbb47, v56
	v_fma_f16 v23, v78, 0x36a6, -v23
	v_add_f16_e32 v22, v57, v25
	v_mul_f16_e32 v57, 0xbbeb, v83
	v_mul_f16_e32 v83, 0xb08e, v80
	v_add_f16_e32 v70, v24, v82
	v_add_f16_e32 v25, v23, v89
	v_fmac_f16_e32 v56, 0x3b47, v92
	v_fmamk_f16 v23, v78, 0xb08e, v57
	v_fmamk_f16 v24, v92, 0x3beb, v83
	v_fma_f16 v82, v78, 0xb08e, -v57
	v_fmac_f16_e32 v83, 0xbbeb, v92
	v_add_f16_e32 v56, v56, v90
	v_add_f16_e32 v23, v23, v91
	;; [unrolled: 1-line block ×5, first 2 shown]
	global_wb scope:SCOPE_SE
	s_barrier_signal -1
	s_barrier_wait -1
	global_inv scope:SCOPE_SE
	s_and_saveexec_b32 s1, vcc_lo
	s_cbranch_execz .LBB0_17
; %bb.16:
	v_mul_f16_e32 v63, 0x3abb, v63
	v_mul_f16_e32 v61, 0x3abb, v61
	;; [unrolled: 1-line block ×5, first 2 shown]
	v_add_f16_e32 v62, v62, v63
	v_sub_f16_e32 v60, v61, v60
	v_mul_f16_e32 v61, 0xb08e, v68
	v_add_f16_e32 v63, v64, v66
	v_sub_f16_e32 v55, v65, v55
	v_add_f16_e32 v54, v54, v62
	v_add_f16_e32 v21, v21, v60
	v_mul_f16_e32 v60, 0xb93d, v76
	v_add_f16_e32 v61, v67, v61
	v_sub_f16_e32 v59, v69, v59
	v_add_f16_e32 v54, v63, v54
	v_add_f16_e32 v21, v55, v21
	v_mul_f16_e32 v55, 0xb93d, v73
	v_mul_f16_e32 v62, 0xbbad, v80
	v_add_f16_e32 v60, v74, v60
	v_add_f16_e32 v54, v61, v54
	;; [unrolled: 1-line block ×3, first 2 shown]
	v_sub_f16_e32 v55, v55, v72
	v_mul_f16_e32 v59, 0xbbad, v78
	v_add_f16_e32 v61, v79, v62
	v_add_f16_e32 v54, v60, v54
	v_and_b32_e32 v35, 0xffff, v35
	v_add_f16_e32 v21, v55, v21
	v_sub_f16_e32 v55, v59, v77
	v_perm_b32 v59, v51, v19, 0x5040100
	v_add_f16_e32 v54, v61, v54
	v_lshl_add_u32 v35, v35, 2, v30
	v_perm_b32 v60, v53, v16, 0x5040100
	v_add_f16_e32 v21, v55, v21
	v_perm_b32 v55, v26, v20, 0x5040100
	v_perm_b32 v61, v58, v15, 0x5040100
	;; [unrolled: 1-line block ×8, first 2 shown]
	v_pack_b32_f16 v21, v21, v54
	ds_store_2addr_b32 v35, v59, v55 offset1:1
	ds_store_2addr_b32 v35, v61, v60 offset0:2 offset1:3
	ds_store_2addr_b32 v35, v63, v62 offset0:4 offset1:5
	;; [unrolled: 1-line block ×4, first 2 shown]
	ds_store_b32 v35, v21 offset:40
.LBB0_17:
	s_wait_alu 0xfffe
	s_or_b32 exec_lo, exec_lo, s1
	global_wb scope:SCOPE_SE
	s_wait_dscnt 0x0
	s_barrier_signal -1
	s_barrier_wait -1
	global_inv scope:SCOPE_SE
	s_and_saveexec_b32 s1, s0
	s_cbranch_execz .LBB0_19
; %bb.18:
	v_add_nc_u32_e32 v17, 0x400, v31
	v_add_nc_u32_e32 v18, 0x600, v31
	v_add_nc_u32_e32 v21, 0x800, v31
	ds_load_2addr_b32 v[19:20], v31 offset1:77
	ds_load_2addr_b32 v[15:16], v31 offset0:154 offset1:231
	ds_load_2addr_b32 v[22:23], v17 offset0:52 offset1:129
	;; [unrolled: 1-line block ×4, first 2 shown]
	s_wait_dscnt 0x4
	v_lshrrev_b32_e32 v51, 16, v19
	v_lshrrev_b32_e32 v26, 16, v20
	s_wait_dscnt 0x3
	v_lshrrev_b32_e32 v58, 16, v15
	v_lshrrev_b32_e32 v53, 16, v16
	;; [unrolled: 3-line block ×5, first 2 shown]
.LBB0_19:
	s_wait_alu 0xfffe
	s_or_b32 exec_lo, exec_lo, s1
	global_wb scope:SCOPE_SE
	s_barrier_signal -1
	s_barrier_wait -1
	global_inv scope:SCOPE_SE
	s_and_saveexec_b32 s1, s0
	s_cbranch_execz .LBB0_21
; %bb.20:
	v_mul_f16_e32 v21, v42, v22
	v_mul_f16_e32 v35, v41, v24
	;; [unrolled: 1-line block ×5, first 2 shown]
	v_fma_f16 v21, v3, v70, -v21
	v_fma_f16 v35, v5, v75, -v35
	v_mul_f16_e32 v43, v43, v58
	v_fma_f16 v54, v1, v58, -v54
	v_fmac_f16_e32 v44, v7, v17
	v_mul_f16_e32 v17, v42, v70
	v_add_f16_e32 v58, v35, v21
	v_mul_f16_e32 v41, v41, v75
	v_mul_f16_e32 v59, v40, v57
	v_fmac_f16_e32 v43, v1, v15
	v_fmac_f16_e32 v17, v3, v22
	v_fma_f16 v15, -0.5, v58, v51
	v_mul_f16_e32 v58, v36, v53
	v_fmac_f16_e32 v41, v5, v24
	v_mul_f16_e32 v3, v38, v52
	v_fmac_f16_e32 v59, v4, v23
	v_mul_f16_e32 v5, v39, v56
	v_mul_f16_e32 v22, v40, v23
	;; [unrolled: 1-line block ×3, first 2 shown]
	v_fmac_f16_e32 v58, v2, v16
	v_fmac_f16_e32 v3, v34, v18
	v_mul_f16_e32 v24, v37, v26
	v_fmac_f16_e32 v5, v6, v25
	v_fma_f16 v4, v4, v57, -v22
	v_mul_f16_e32 v22, v37, v20
	v_fma_f16 v6, v6, v56, -v23
	v_mul_f16_e32 v16, v36, v16
	v_mul_f16_e32 v18, v38, v18
	v_fmac_f16_e32 v24, v0, v20
	v_fma_f16 v0, v0, v26, -v22
	v_add_f16_e32 v20, v6, v4
	v_fma_f16 v2, v2, v53, -v16
	v_fma_f16 v16, v34, v52, -v18
	v_sub_f16_e32 v23, v58, v3
	v_add_f16_e32 v60, v3, v58
	v_fma_f16 v20, -0.5, v20, v0
	v_fma_f16 v55, v7, v71, -v55
	v_add_f16_e32 v57, v16, v2
	v_add_f16_e32 v22, v5, v59
	v_sub_f16_e32 v26, v2, v4
	v_sub_f16_e32 v34, v16, v6
	v_fmamk_f16 v36, v23, 0xbb9c, v20
	v_sub_f16_e32 v37, v59, v5
	v_sub_f16_e32 v40, v4, v6
	v_fma_f16 v57, -0.5, v57, v0
	v_fma_f16 v60, -0.5, v60, v24
	v_fmac_f16_e32 v20, 0x3b9c, v23
	v_add_f16_e32 v0, v2, v0
	v_fma_f16 v22, -0.5, v22, v24
	v_sub_f16_e32 v25, v2, v16
	v_add_f16_e32 v26, v34, v26
	v_fmac_f16_e32 v36, 0xb8b4, v37
	v_add_f16_e32 v53, v55, v54
	v_fmamk_f16 v67, v40, 0xbb9c, v60
	v_fmac_f16_e32 v60, 0x3b9c, v40
	v_fmac_f16_e32 v20, 0x38b4, v37
	v_add_f16_e32 v0, v4, v0
	v_fmamk_f16 v39, v25, 0x3b9c, v22
	v_sub_f16_e32 v52, v17, v41
	v_fmac_f16_e32 v36, 0x34f2, v26
	v_fma_f16 v53, -0.5, v53, v51
	v_sub_f16_e32 v65, v6, v16
	v_fmac_f16_e32 v67, 0x38b4, v25
	v_fmac_f16_e32 v60, 0xb8b4, v25
	;; [unrolled: 1-line block ×3, first 2 shown]
	v_add_f16_e32 v25, v54, v51
	v_fmac_f16_e32 v20, 0x34f2, v26
	v_add_f16_e32 v0, v6, v0
	v_add_f16_e32 v6, v41, v17
	;; [unrolled: 1-line block ×3, first 2 shown]
	v_sub_f16_e32 v42, v43, v44
	v_sub_f16_e32 v18, v58, v59
	;; [unrolled: 1-line block ×6, first 2 shown]
	v_fmamk_f16 v66, v37, 0x3b9c, v57
	v_fmac_f16_e32 v57, 0xbb9c, v37
	v_fmamk_f16 v68, v52, 0x3b9c, v53
	v_fmac_f16_e32 v53, 0xbb9c, v52
	v_add_f16_e32 v2, v21, v25
	v_fma_f16 v6, -0.5, v6, v19
	v_sub_f16_e32 v37, v54, v55
	v_fma_f16 v26, -0.5, v26, v19
	v_add_f16_e32 v19, v43, v19
	v_add_f16_e32 v24, v58, v24
	v_sub_f16_e32 v1, v54, v21
	v_sub_f16_e32 v7, v55, v35
	v_fmamk_f16 v34, v42, 0xbb9c, v15
	v_add_f16_e32 v18, v38, v18
	v_fmac_f16_e32 v39, 0x38b4, v40
	v_sub_f16_e32 v56, v21, v54
	v_add_f16_e32 v62, v63, v62
	v_add_f16_e32 v63, v65, v64
	v_fmac_f16_e32 v66, 0xb8b4, v23
	v_fmac_f16_e32 v57, 0x38b4, v23
	v_fmac_f16_e32 v15, 0x3b9c, v42
	v_sub_f16_e32 v21, v21, v35
	v_sub_f16_e32 v61, v35, v55
	v_fmac_f16_e32 v68, 0xb8b4, v42
	v_fmac_f16_e32 v53, 0x38b4, v42
	;; [unrolled: 1-line block ×3, first 2 shown]
	v_add_f16_e32 v2, v35, v2
	v_sub_f16_e32 v40, v43, v17
	v_sub_f16_e32 v35, v44, v41
	v_fmamk_f16 v42, v37, 0x3b9c, v6
	v_sub_f16_e32 v51, v17, v43
	v_fmac_f16_e32 v6, 0xbb9c, v37
	v_add_f16_e32 v17, v17, v19
	v_add_f16_e32 v19, v59, v24
	v_add_f16_e32 v1, v7, v1
	v_fmac_f16_e32 v34, 0xb8b4, v52
	v_fmac_f16_e32 v39, 0x34f2, v18
	v_mul_f16_e32 v7, 0xba79, v36
	v_fmac_f16_e32 v66, 0x34f2, v63
	v_fmac_f16_e32 v57, 0x34f2, v63
	;; [unrolled: 1-line block ×3, first 2 shown]
	v_sub_f16_e32 v52, v41, v44
	v_fmamk_f16 v54, v21, 0xbb9c, v26
	v_mul_f16_e32 v36, 0xb8b4, v36
	v_fmac_f16_e32 v26, 0x3b9c, v21
	v_fmac_f16_e32 v22, 0x34f2, v18
	v_mul_f16_e32 v4, 0x3a79, v20
	v_add_f16_e32 v35, v35, v40
	v_fmac_f16_e32 v6, 0xb8b4, v21
	v_mul_f16_e32 v20, 0xb8b4, v20
	v_add_f16_e32 v17, v41, v17
	v_add_f16_e32 v5, v5, v19
	v_fmac_f16_e32 v7, 0x38b4, v39
	v_add_f16_e32 v56, v61, v56
	v_fmac_f16_e32 v67, 0x34f2, v62
	v_mul_f16_e32 v61, 0xb4f2, v66
	v_fmac_f16_e32 v60, 0x34f2, v62
	v_mul_f16_e32 v23, 0x34f2, v57
	v_add_f16_e32 v40, v52, v51
	v_fmac_f16_e32 v54, 0x38b4, v37
	v_fmac_f16_e32 v36, 0xba79, v39
	v_mul_f16_e32 v39, 0xbb9c, v66
	v_fmac_f16_e32 v26, 0xb8b4, v37
	v_mul_f16_e32 v24, 0xbb9c, v57
	v_fmac_f16_e32 v42, 0x38b4, v21
	v_fmac_f16_e32 v34, 0x34f2, v1
	;; [unrolled: 1-line block ×4, first 2 shown]
	v_add_f16_e32 v1, v55, v2
	v_add_f16_e32 v0, v16, v0
	v_fmac_f16_e32 v6, 0x34f2, v35
	v_fmac_f16_e32 v20, 0x3a79, v22
	v_add_f16_e32 v17, v44, v17
	v_add_f16_e32 v3, v3, v5
	v_mul_u32_u24_e32 v33, 0x6e, v33
	v_fmac_f16_e32 v68, 0x34f2, v56
	v_fmac_f16_e32 v61, 0x3b9c, v67
	;; [unrolled: 1-line block ×9, first 2 shown]
	v_sub_f16_e32 v18, v15, v4
	v_sub_f16_e32 v25, v1, v0
	;; [unrolled: 1-line block ×4, first 2 shown]
	v_add_f16_e32 v4, v15, v4
	v_add_f16_e32 v0, v1, v0
	v_add_nc_u32_e32 v15, v33, v32
	v_add_f16_e32 v3, v17, v3
	v_add_f16_e32 v6, v6, v20
	v_sub_f16_e32 v38, v34, v7
	v_sub_f16_e32 v16, v53, v23
	v_add_f16_e32 v7, v34, v7
	v_add_f16_e32 v34, v68, v61
	;; [unrolled: 1-line block ×6, first 2 shown]
	v_sub_f16_e32 v21, v26, v24
	v_sub_f16_e32 v2, v68, v61
	;; [unrolled: 1-line block ×4, first 2 shown]
	v_lshl_add_u32 v15, v15, 2, v30
	v_pack_b32_f16 v0, v3, v0
	v_pack_b32_f16 v3, v6, v4
	;; [unrolled: 1-line block ×10, first 2 shown]
	ds_store_2addr_b32 v15, v0, v3 offset1:11
	ds_store_2addr_b32 v15, v4, v6 offset0:22 offset1:33
	ds_store_2addr_b32 v15, v1, v7 offset0:44 offset1:55
	;; [unrolled: 1-line block ×4, first 2 shown]
.LBB0_21:
	s_wait_alu 0xfffe
	s_or_b32 exec_lo, exec_lo, s1
	global_wb scope:SCOPE_SE
	s_wait_dscnt 0x0
	s_barrier_signal -1
	s_barrier_wait -1
	global_inv scope:SCOPE_SE
	ds_load_2addr_b32 v[0:1], v31 offset1:110
	v_add_nc_u32_e32 v2, 0x200, v31
	v_add_nc_u32_e32 v4, 0x600, v31
	ds_load_b32 v6, v31 offset:2640
	ds_load_2addr_b32 v[2:3], v2 offset0:92 offset1:202
	ds_load_2addr_b32 v[4:5], v4 offset0:56 offset1:166
	s_wait_dscnt 0x3
	v_lshrrev_b32_e32 v15, 16, v1
	v_mul_f16_e32 v17, v50, v1
	v_lshrrev_b32_e32 v7, 16, v0
	s_wait_dscnt 0x2
	v_lshrrev_b32_e32 v16, 16, v6
	s_wait_dscnt 0x1
	v_lshrrev_b32_e32 v19, 16, v2
	v_lshrrev_b32_e32 v20, 16, v3
	s_wait_dscnt 0x0
	v_lshrrev_b32_e32 v21, 16, v4
	v_lshrrev_b32_e32 v22, 16, v5
	v_mul_f16_e32 v23, v50, v15
	v_fma_f16 v15, v8, v15, -v17
	v_mul_f16_e32 v17, v48, v2
	v_mul_f16_e32 v24, v46, v3
	;; [unrolled: 1-line block ×5, first 2 shown]
	v_fmac_f16_e32 v23, v8, v1
	v_mul_f16_e32 v1, v48, v19
	v_fma_f16 v8, v9, v19, -v17
	v_mul_f16_e32 v17, v46, v20
	v_mul_f16_e32 v19, v47, v21
	v_fma_f16 v20, v10, v20, -v24
	v_mul_f16_e32 v24, v45, v22
	v_mul_f16_e32 v25, v47, v4
	v_fmac_f16_e32 v1, v9, v2
	v_fmac_f16_e32 v19, v11, v4
	;; [unrolled: 1-line block ×3, first 2 shown]
	v_fma_f16 v2, v14, v16, -v18
	v_fmac_f16_e32 v24, v13, v5
	v_fma_f16 v4, v13, v22, -v26
	v_fmac_f16_e32 v17, v10, v3
	v_fma_f16 v3, v11, v21, -v25
	v_add_f16_e32 v5, v23, v30
	v_add_f16_e32 v6, v15, v2
	;; [unrolled: 1-line block ×4, first 2 shown]
	v_sub_f16_e32 v2, v15, v2
	v_sub_f16_e32 v1, v1, v24
	;; [unrolled: 1-line block ×3, first 2 shown]
	v_add_f16_e32 v8, v17, v19
	v_add_f16_e32 v13, v20, v3
	v_sub_f16_e32 v14, v19, v17
	v_sub_f16_e32 v3, v3, v20
	v_add_f16_e32 v15, v10, v5
	v_add_f16_e32 v16, v11, v6
	v_sub_f16_e32 v9, v23, v30
	v_sub_f16_e32 v17, v10, v5
	;; [unrolled: 1-line block ×7, first 2 shown]
	v_add_f16_e32 v19, v14, v1
	v_add_f16_e32 v20, v3, v4
	v_sub_f16_e32 v21, v14, v1
	v_sub_f16_e32 v22, v3, v4
	v_add_f16_e32 v8, v8, v15
	v_add_f16_e32 v13, v13, v16
	v_sub_f16_e32 v1, v1, v9
	v_sub_f16_e32 v4, v4, v2
	;; [unrolled: 1-line block ×4, first 2 shown]
	v_add_f16_e32 v9, v19, v9
	v_add_f16_e32 v2, v20, v2
	;; [unrolled: 1-line block ×4, first 2 shown]
	v_mul_f16_e32 v5, 0x3a52, v5
	v_mul_f16_e32 v6, 0x3a52, v6
	;; [unrolled: 1-line block ×8, first 2 shown]
	v_fmamk_f16 v8, v8, 0xbcab, v0
	v_fmamk_f16 v13, v13, 0xbcab, v7
	;; [unrolled: 1-line block ×4, first 2 shown]
	v_fma_f16 v15, v17, 0x39e0, -v15
	v_fma_f16 v16, v18, 0x39e0, -v16
	;; [unrolled: 1-line block ×4, first 2 shown]
	v_fmamk_f16 v17, v14, 0xb574, v19
	v_fmamk_f16 v18, v3, 0xb574, v20
	v_fma_f16 v1, v1, 0xbb00, -v19
	v_fma_f16 v4, v4, 0xbb00, -v20
	;; [unrolled: 1-line block ×4, first 2 shown]
	v_add_f16_e32 v10, v10, v8
	v_add_f16_e32 v11, v11, v13
	v_fmac_f16_e32 v17, 0xb70e, v9
	v_fmac_f16_e32 v18, 0xb70e, v2
	v_add_f16_e32 v15, v15, v8
	v_add_f16_e32 v16, v16, v13
	;; [unrolled: 1-line block ×4, first 2 shown]
	v_fmac_f16_e32 v1, 0xb70e, v9
	v_fmac_f16_e32 v3, 0xb70e, v2
	;; [unrolled: 1-line block ×4, first 2 shown]
	v_add_f16_e32 v2, v18, v10
	v_sub_f16_e32 v8, v11, v17
	v_add_f16_e32 v9, v3, v5
	v_sub_f16_e32 v13, v6, v14
	v_sub_f16_e32 v19, v15, v4
	v_add_f16_e32 v20, v1, v16
	v_add_f16_e32 v4, v4, v15
	v_sub_f16_e32 v1, v16, v1
	v_sub_f16_e32 v5, v5, v3
	v_add_f16_e32 v6, v14, v6
	v_sub_f16_e32 v10, v10, v18
	v_add_f16_e32 v11, v17, v11
	v_pack_b32_f16 v7, v0, v7
	v_pack_b32_f16 v2, v2, v8
	v_add_nc_u32_e32 v3, 0x200, v29
	v_add_nc_u32_e32 v0, 0x600, v29
	v_pack_b32_f16 v8, v9, v13
	v_pack_b32_f16 v9, v19, v20
	;; [unrolled: 1-line block ×5, first 2 shown]
	ds_store_2addr_b32 v29, v7, v2 offset1:110
	ds_store_2addr_b32 v3, v8, v9 offset0:92 offset1:202
	ds_store_2addr_b32 v0, v1, v4 offset0:56 offset1:166
	ds_store_b32 v29, v5 offset:2640
	global_wb scope:SCOPE_SE
	s_wait_dscnt 0x0
	s_barrier_signal -1
	s_barrier_wait -1
	global_inv scope:SCOPE_SE
	s_and_b32 exec_lo, exec_lo, vcc_lo
	s_cbranch_execz .LBB0_23
; %bb.22:
	s_clause 0x6
	global_load_b32 v1, v27, s[10:11]
	global_load_b32 v2, v27, s[10:11] offset:280
	global_load_b32 v7, v27, s[10:11] offset:560
	;; [unrolled: 1-line block ×6, first 2 shown]
	ds_load_b32 v23, v29
	ds_load_2addr_b32 v[15:16], v29 offset0:70 offset1:140
	ds_load_2addr_b32 v[17:18], v3 offset0:82 offset1:152
	global_load_b32 v4, v27, s[10:11] offset:1960
	v_mad_co_u64_u32 v[13:14], null, s4, v28, 0
	v_mad_co_u64_u32 v[10:11], null, s6, v12, 0
	s_mov_b32 s22, 0xe6bb82fe
	s_mov_b32 s23, 0x3f554725
	s_mul_u64 s[20:21], s[4:5], 0x118
	s_delay_alu instid0(VALU_DEP_2) | instskip(NEXT) | instid1(VALU_DEP_1)
	v_mov_b32_e32 v5, v14
	v_mad_co_u64_u32 v[21:22], null, s5, v28, v[5:6]
	v_add_nc_u32_e32 v3, 0x400, v29
	s_wait_dscnt 0x1
	v_lshrrev_b32_e32 v24, 16, v15
	v_lshrrev_b32_e32 v26, 16, v16
	s_wait_dscnt 0x0
	v_lshrrev_b32_e32 v28, 16, v18
	v_mov_b32_e32 v14, v21
	ds_load_2addr_b32 v[19:20], v3 offset0:94 offset1:164
	v_mov_b32_e32 v3, v11
	s_wait_dscnt 0x0
	v_lshrrev_b32_e32 v30, 16, v19
	v_lshrrev_b32_e32 v39, 16, v20
	s_wait_loadcnt 0x7
	v_lshrrev_b32_e32 v21, 16, v1
	s_wait_loadcnt 0x6
	;; [unrolled: 2-line block ×6, first 2 shown]
	v_lshrrev_b32_e32 v35, 16, v25
	v_mul_f16_e32 v36, v15, v22
	v_mul_f16_e32 v37, v26, v32
	s_wait_loadcnt 0x0
	v_mad_co_u64_u32 v[11:12], null, s7, v12, v[3:4]
	v_lshrrev_b32_e32 v12, 16, v23
	s_clause 0x2
	global_load_b32 v3, v27, s[10:11] offset:2240
	global_load_b32 v5, v27, s[10:11] offset:2520
	;; [unrolled: 1-line block ×3, first 2 shown]
	v_lshrrev_b32_e32 v27, 16, v17
	v_fmac_f16_e32 v37, v16, v7
	v_mul_f16_e32 v31, v12, v21
	v_mul_f16_e32 v21, v23, v21
	v_lshlrev_b64_e32 v[10:11], 2, v[10:11]
	s_delay_alu instid0(VALU_DEP_3) | instskip(SKIP_1) | instid1(VALU_DEP_4)
	v_fmac_f16_e32 v31, v23, v1
	v_mul_f16_e32 v23, v24, v22
	v_fma_f16 v1, v1, v12, -v21
	v_mul_f16_e32 v12, v16, v32
	v_mul_f16_e32 v32, v17, v33
	v_cvt_f32_f16_e32 v22, v31
	v_fmac_f16_e32 v23, v15, v2
	v_cvt_f32_f16_e32 v1, v1
	v_fma_f16 v15, v2, v24, -v36
	v_mul_f16_e32 v31, v27, v33
	v_cvt_f64_f32_e32 v[21:22], v22
	v_cvt_f32_f16_e32 v23, v23
	v_cvt_f64_f32_e32 v[1:2], v1
	v_cvt_f32_f16_e32 v24, v15
	v_fma_f16 v7, v7, v26, -v12
	v_cvt_f32_f16_e32 v12, v37
	v_cvt_f64_f32_e32 v[15:16], v23
	v_mul_f16_e32 v33, v28, v34
	v_cvt_f64_f32_e32 v[23:24], v24
	v_fmac_f16_e32 v31, v17, v8
	v_cvt_f32_f16_e32 v17, v7
	v_fma_f16 v27, v8, v27, -v32
	v_cvt_f64_f32_e32 v[7:8], v12
	v_mul_f16_e32 v34, v18, v34
	v_mul_f16_e32 v36, v30, v35
	;; [unrolled: 1-line block ×3, first 2 shown]
	v_fmac_f16_e32 v33, v18, v9
	v_cvt_f32_f16_e32 v12, v31
	v_cvt_f64_f32_e32 v[17:18], v17
	v_fmac_f16_e32 v36, v19, v25
	v_cvt_f32_f16_e32 v19, v27
	v_fma_f16 v30, v25, v30, -v26
	v_cvt_f64_f32_e32 v[25:26], v12
	v_fma_f16 v9, v9, v28, -v34
	v_cvt_f32_f16_e32 v31, v33
	v_cvt_f64_f32_e32 v[27:28], v19
	v_cvt_f32_f16_e32 v19, v36
	v_cvt_f32_f16_e32 v36, v30
	;; [unrolled: 1-line block ×3, first 2 shown]
	v_cvt_f64_f32_e32 v[30:31], v31
	v_lshlrev_b64_e32 v[12:13], 2, v[13:14]
	v_lshrrev_b32_e32 v14, 16, v38
	v_cvt_f64_f32_e32 v[34:35], v19
	v_cvt_f64_f32_e32 v[32:33], v9
	v_add_co_u32 v9, vcc_lo, s8, v10
	s_wait_alu 0xfffd
	v_add_co_ci_u32_e32 v10, vcc_lo, s9, v11, vcc_lo
	v_mul_f64_e32 v[21:22], s[22:23], v[21:22]
	s_delay_alu instid0(VALU_DEP_3)
	v_add_co_u32 v9, vcc_lo, v9, v12
	v_mul_f64_e32 v[1:2], s[22:23], v[1:2]
	s_wait_alu 0xfffd
	v_add_co_ci_u32_e32 v10, vcc_lo, v10, v13, vcc_lo
	v_mul_f64_e32 v[11:12], s[22:23], v[15:16]
	v_mul_f16_e32 v40, v39, v14
	v_mul_f16_e32 v19, v20, v14
	v_mul_f64_e32 v[13:14], s[22:23], v[23:24]
	v_cvt_f64_f32_e32 v[36:37], v36
	v_add_co_u32 v15, vcc_lo, v9, s20
	v_mul_f64_e32 v[7:8], s[22:23], v[7:8]
	s_wait_alu 0xfffd
	v_add_co_ci_u32_e32 v16, vcc_lo, s21, v10, vcc_lo
	v_fmac_f16_e32 v40, v20, v38
	v_fma_f16 v38, v38, v39, -v19
	v_mul_f64_e32 v[17:18], s[22:23], v[17:18]
	v_add_co_u32 v19, vcc_lo, v15, s20
	s_wait_alu 0xfffd
	v_add_co_ci_u32_e32 v20, vcc_lo, s21, v16, vcc_lo
	v_mul_f64_e32 v[23:24], s[22:23], v[25:26]
	v_cvt_f32_f16_e32 v39, v40
	v_mul_f64_e32 v[25:26], s[22:23], v[27:28]
	v_add_co_u32 v27, vcc_lo, v19, s20
	s_wait_alu 0xfffd
	v_add_co_ci_u32_e32 v28, vcc_lo, s21, v20, vcc_lo
	v_mul_f64_e32 v[30:31], s[22:23], v[30:31]
	v_cvt_f32_f16_e32 v40, v38
	v_mul_f64_e32 v[34:35], s[22:23], v[34:35]
	v_mul_f64_e32 v[32:33], s[22:23], v[32:33]
	v_cvt_f64_f32_e32 v[38:39], v39
	s_delay_alu instid0(VALU_DEP_4)
	v_cvt_f64_f32_e32 v[40:41], v40
	v_and_or_b32 v21, 0x1ff, v22, v21
	v_lshrrev_b32_e32 v42, 8, v22
	v_bfe_u32 v43, v22, 20, 11
	v_and_or_b32 v1, 0x1ff, v2, v1
	v_lshrrev_b32_e32 v44, 8, v2
	v_cmp_ne_u32_e32 vcc_lo, 0, v21
	v_and_or_b32 v11, 0x1ff, v12, v11
	v_bfe_u32 v45, v2, 20, 11
	v_lshrrev_b32_e32 v46, 8, v12
	v_and_or_b32 v13, 0x1ff, v14, v13
	s_wait_alu 0xfffd
	v_cndmask_b32_e64 v21, 0, 1, vcc_lo
	v_cmp_ne_u32_e32 vcc_lo, 0, v1
	v_mul_f64_e32 v[36:37], s[22:23], v[36:37]
	v_and_or_b32 v7, 0x1ff, v8, v7
	v_bfe_u32 v47, v12, 20, 11
	v_and_or_b32 v21, 0xffe, v42, v21
	s_wait_alu 0xfffd
	v_cndmask_b32_e64 v1, 0, 1, vcc_lo
	v_cmp_ne_u32_e32 vcc_lo, 0, v11
	v_and_or_b32 v17, 0x1ff, v18, v17
	v_sub_nc_u32_e32 v66, 0x3f1, v43
	v_add_nc_u32_e32 v43, 0xfffffc10, v43
	v_and_or_b32 v1, 0xffe, v44, v1
	s_wait_alu 0xfffd
	v_cndmask_b32_e64 v11, 0, 1, vcc_lo
	v_cmp_ne_u32_e32 vcc_lo, 0, v13
	v_and_or_b32 v23, 0x1ff, v24, v23
	v_and_or_b32 v25, 0x1ff, v26, v25
	v_lshrrev_b32_e32 v48, 8, v14
	v_bfe_u32 v49, v14, 20, 11
	s_wait_alu 0xfffd
	v_cndmask_b32_e64 v13, 0, 1, vcc_lo
	v_cmp_ne_u32_e32 vcc_lo, 0, v7
	v_and_or_b32 v30, 0x1ff, v31, v30
	v_bfe_u32 v51, v8, 20, 11
	v_and_or_b32 v34, 0x1ff, v35, v34
	v_and_or_b32 v32, 0x1ff, v33, v32
	s_wait_alu 0xfffd
	v_cndmask_b32_e64 v7, 0, 1, vcc_lo
	v_cmp_ne_u32_e32 vcc_lo, 0, v17
	v_sub_nc_u32_e32 v67, 0x3f1, v45
	v_add_nc_u32_e32 v45, 0xfffffc10, v45
	v_sub_nc_u32_e32 v68, 0x3f1, v47
	v_med3_i32 v42, v66, 0, 13
	s_wait_alu 0xfffd
	v_cndmask_b32_e64 v17, 0, 1, vcc_lo
	v_cmp_ne_u32_e32 vcc_lo, 0, v23
	v_and_or_b32 v11, 0xffe, v46, v11
	v_lshl_or_b32 v66, v43, 12, v21
	v_lshrrev_b32_e32 v50, 8, v8
	v_bfe_u32 v53, v18, 20, 11
	s_wait_alu 0xfffd
	v_cndmask_b32_e64 v23, 0, 1, vcc_lo
	v_cmp_ne_u32_e32 vcc_lo, 0, v25
	v_bfe_u32 v55, v24, 20, 11
	v_add_nc_u32_e32 v47, 0xfffffc10, v47
	v_and_or_b32 v36, 0x1ff, v37, v36
	v_lshrrev_b32_e32 v64, 8, v37
	s_wait_alu 0xfffd
	v_cndmask_b32_e64 v25, 0, 1, vcc_lo
	v_cmp_ne_u32_e32 vcc_lo, 0, v30
	v_sub_nc_u32_e32 v69, 0x3f1, v49
	v_sub_nc_u32_e32 v70, 0x3f1, v51
	v_med3_i32 v44, v67, 0, 13
	v_med3_i32 v46, v68, 0, 13
	s_wait_alu 0xfffd
	v_cndmask_b32_e64 v30, 0, 1, vcc_lo
	v_cmp_ne_u32_e32 vcc_lo, 0, v32
	v_and_or_b32 v13, 0xffe, v48, v13
	v_or_b32_e32 v67, 0x1000, v1
	v_lshl_or_b32 v68, v45, 12, v1
	v_lshrrev_b32_e32 v52, 8, v18
	s_wait_alu 0xfffd
	v_cndmask_b32_e64 v32, 0, 1, vcc_lo
	v_cmp_ne_u32_e32 vcc_lo, 0, v34
	v_lshrrev_b32_e32 v54, 8, v24
	v_bfe_u32 v57, v26, 20, 11
	v_bfe_u32 v59, v31, 20, 11
	v_add_nc_u32_e32 v49, 0xfffffc10, v49
	s_wait_alu 0xfffd
	v_cndmask_b32_e64 v34, 0, 1, vcc_lo
	v_cmp_ne_u32_e32 vcc_lo, 0, v36
	v_sub_nc_u32_e32 v71, 0x3f1, v53
	v_sub_nc_u32_e32 v72, 0x3f1, v55
	v_med3_i32 v48, v69, 0, 13
	v_and_or_b32 v7, 0xffe, v50, v7
	s_wait_alu 0xfffd
	v_cndmask_b32_e64 v36, 0, 1, vcc_lo
	v_cmp_ne_u32_e32 vcc_lo, 0, v21
	v_med3_i32 v50, v70, 0, 13
	v_or_b32_e32 v69, 0x1000, v11
	v_lshl_or_b32 v70, v47, 12, v11
	v_and_or_b32 v36, 0xffe, v64, v36
	v_or_b32_e32 v64, 0x1000, v21
	s_wait_alu 0xfffd
	v_cndmask_b32_e64 v21, 0, 1, vcc_lo
	v_cmp_ne_u32_e32 vcc_lo, 0, v1
	v_lshrrev_b32_e32 v56, 8, v26
	v_lshrrev_b32_e32 v58, 8, v31
	v_bfe_u32 v61, v33, 20, 11
	v_bfe_u32 v63, v35, 20, 11
	s_wait_alu 0xfffd
	v_cndmask_b32_e64 v1, 0, 1, vcc_lo
	v_cmp_ne_u32_e32 vcc_lo, 0, v11
	v_add_nc_u32_e32 v51, 0xfffffc10, v51
	v_sub_nc_u32_e32 v73, 0x3f1, v57
	v_sub_nc_u32_e32 v74, 0x3f1, v59
	v_and_or_b32 v17, 0xffe, v52, v17
	s_wait_alu 0xfffd
	v_cndmask_b32_e64 v11, 0, 1, vcc_lo
	v_cmp_ne_u32_e32 vcc_lo, 0, v13
	v_med3_i32 v52, v71, 0, 13
	v_and_or_b32 v23, 0xffe, v54, v23
	v_med3_i32 v54, v72, 0, 13
	v_or_b32_e32 v71, 0x1000, v13
	v_lshl_or_b32 v72, v49, 12, v13
	s_wait_alu 0xfffd
	v_cndmask_b32_e64 v13, 0, 1, vcc_lo
	v_cmp_ne_u32_e32 vcc_lo, 0, v7
	v_lshrrev_b32_e32 v60, 8, v33
	v_lshrrev_b32_e32 v62, 8, v35
	v_add_nc_u32_e32 v53, 0xfffffc10, v53
	v_sub_nc_u32_e32 v75, 0x3f1, v61
	v_sub_nc_u32_e32 v76, 0x3f1, v63
	v_and_or_b32 v25, 0xffe, v56, v25
	v_med3_i32 v56, v73, 0, 13
	v_and_or_b32 v30, 0xffe, v58, v30
	v_med3_i32 v58, v74, 0, 13
	v_or_b32_e32 v73, 0x1000, v7
	v_lshl_or_b32 v74, v51, 12, v7
	s_wait_alu 0xfffd
	v_cndmask_b32_e64 v7, 0, 1, vcc_lo
	v_cmp_ne_u32_e32 vcc_lo, 0, v17
	v_add_nc_u32_e32 v55, 0xfffffc10, v55
	v_and_or_b32 v32, 0xffe, v60, v32
	v_med3_i32 v60, v75, 0, 13
	v_and_or_b32 v34, 0xffe, v62, v34
	v_med3_i32 v62, v76, 0, 13
	v_or_b32_e32 v75, 0x1000, v17
	v_lshl_or_b32 v76, v53, 12, v17
	s_wait_alu 0xfffd
	v_cndmask_b32_e64 v17, 0, 1, vcc_lo
	v_cmp_ne_u32_e32 vcc_lo, 0, v23
	v_add_nc_u32_e32 v57, 0xfffffc10, v57
	v_or_b32_e32 v77, 0x1000, v23
	v_lshl_or_b32 v78, v55, 12, v23
	v_add_nc_u32_e32 v59, 0xfffffc10, v59
	s_wait_alu 0xfffd
	v_cndmask_b32_e64 v23, 0, 1, vcc_lo
	v_cmp_ne_u32_e32 vcc_lo, 0, v25
	v_or_b32_e32 v79, 0x1000, v25
	v_lshl_or_b32 v80, v57, 12, v25
	v_lshrrev_b32_e32 v87, v42, v64
	v_add_nc_u32_e32 v61, 0xfffffc10, v61
	s_wait_alu 0xfffd
	v_cndmask_b32_e64 v25, 0, 1, vcc_lo
	v_cmp_ne_u32_e32 vcc_lo, 0, v30
	v_or_b32_e32 v81, 0x1000, v30
	v_lshl_or_b32 v82, v59, 12, v30
	v_lshrrev_b32_e32 v88, v44, v67
	v_lshlrev_b32_e32 v42, v42, v87
	s_wait_alu 0xfffd
	v_cndmask_b32_e64 v30, 0, 1, vcc_lo
	v_cmp_ne_u32_e32 vcc_lo, 0, v32
	v_or_b32_e32 v83, 0x1000, v32
	v_lshl_or_b32 v84, v61, 12, v32
	v_lshrrev_b32_e32 v89, v46, v69
	v_lshlrev_b32_e32 v44, v44, v88
	s_wait_alu 0xfffd
	v_cndmask_b32_e64 v32, 0, 1, vcc_lo
	v_cmp_ne_u32_e32 vcc_lo, v42, v64
	v_lshrrev_b32_e32 v90, v48, v71
	v_lshlrev_b32_e32 v46, v46, v89
	v_lshl_or_b32 v21, v21, 9, 0x7c00
	v_lshrrev_b32_e32 v91, v50, v73
	s_wait_alu 0xfffd
	v_cndmask_b32_e64 v42, 0, 1, vcc_lo
	v_cmp_ne_u32_e32 vcc_lo, v44, v67
	v_lshlrev_b32_e32 v48, v48, v90
	v_lshl_or_b32 v1, v1, 9, 0x7c00
	v_lshrrev_b32_e32 v92, v52, v75
	v_lshlrev_b32_e32 v50, v50, v91
	s_wait_alu 0xfffd
	v_cndmask_b32_e64 v44, 0, 1, vcc_lo
	v_cmp_ne_u32_e32 vcc_lo, v46, v69
	v_lshl_or_b32 v11, v11, 9, 0x7c00
	v_lshrrev_b32_e32 v93, v54, v77
	v_lshlrev_b32_e32 v52, v52, v92
	v_lshrrev_b32_e32 v94, v56, v79
	s_wait_alu 0xfffd
	v_cndmask_b32_e64 v46, 0, 1, vcc_lo
	v_cmp_ne_u32_e32 vcc_lo, v48, v71
	v_lshlrev_b32_e32 v54, v54, v93
	v_lshl_or_b32 v7, v7, 9, 0x7c00
	v_lshrrev_b32_e32 v95, v58, v81
	v_lshlrev_b32_e32 v56, v56, v94
	s_wait_alu 0xfffd
	v_cndmask_b32_e64 v48, 0, 1, vcc_lo
	v_cmp_ne_u32_e32 vcc_lo, v50, v73
	v_or_b32_e32 v85, 0x1000, v34
	v_lshl_or_b32 v13, v13, 9, 0x7c00
	v_lshrrev_b32_e32 v96, v60, v83
	v_lshlrev_b32_e32 v58, v58, v95
	s_wait_alu 0xfffd
	v_cndmask_b32_e64 v50, 0, 1, vcc_lo
	v_cmp_ne_u32_e32 vcc_lo, v52, v75
	v_lshl_or_b32 v23, v23, 9, 0x7c00
	v_lshrrev_b32_e32 v97, v62, v85
	v_lshlrev_b32_e32 v60, v60, v96
	v_or_b32_e32 v42, v87, v42
	s_wait_alu 0xfffd
	v_cndmask_b32_e64 v52, 0, 1, vcc_lo
	v_cmp_ne_u32_e32 vcc_lo, v54, v77
	v_lshlrev_b32_e32 v62, v62, v97
	v_or_b32_e32 v44, v88, v44
	v_or_b32_e32 v46, v89, v46
	;; [unrolled: 1-line block ×3, first 2 shown]
	s_wait_alu 0xfffd
	v_cndmask_b32_e64 v54, 0, 1, vcc_lo
	v_cmp_ne_u32_e32 vcc_lo, v56, v79
	v_or_b32_e32 v50, v91, v50
	v_or_b32_e32 v52, v92, v52
	v_lshl_or_b32 v17, v17, 9, 0x7c00
	v_or_b32_e32 v54, v93, v54
	s_wait_alu 0xfffd
	v_cndmask_b32_e64 v56, 0, 1, vcc_lo
	v_cmp_ne_u32_e32 vcc_lo, v58, v81
	v_lshl_or_b32 v25, v25, 9, 0x7c00
	v_lshl_or_b32 v30, v30, 9, 0x7c00
	v_lshrrev_b32_e32 v22, 16, v22
	v_or_b32_e32 v56, v94, v56
	s_wait_alu 0xfffd
	v_cndmask_b32_e64 v58, 0, 1, vcc_lo
	v_cmp_ne_u32_e32 vcc_lo, v60, v83
	v_lshrrev_b32_e32 v2, 16, v2
	v_lshrrev_b32_e32 v12, 16, v12
	v_lshrrev_b32_e32 v8, 16, v8
	v_or_b32_e32 v58, v95, v58
	s_wait_alu 0xfffd
	v_cndmask_b32_e64 v60, 0, 1, vcc_lo
	v_cmp_ne_u32_e32 vcc_lo, v62, v85
	v_lshrrev_b32_e32 v14, 16, v14
	v_lshrrev_b32_e32 v18, 16, v18
	;; [unrolled: 1-line block ×3, first 2 shown]
	v_or_b32_e32 v60, v96, v60
	s_wait_alu 0xfffd
	v_cndmask_b32_e64 v62, 0, 1, vcc_lo
	v_cmp_gt_i32_e32 vcc_lo, 1, v43
	v_bfe_u32 v65, v37, 20, 11
	v_lshrrev_b32_e32 v26, 16, v26
	v_lshrrev_b32_e32 v31, 16, v31
	v_or_b32_e32 v62, v97, v62
	s_wait_alu 0xfffd
	v_cndmask_b32_e32 v42, v66, v42, vcc_lo
	v_cmp_gt_i32_e32 vcc_lo, 1, v45
	s_delay_alu instid0(VALU_DEP_2)
	v_and_b32_e32 v64, 7, v42
	s_wait_alu 0xfffd
	v_cndmask_b32_e32 v44, v68, v44, vcc_lo
	v_cmp_gt_i32_e32 vcc_lo, 1, v47
	v_lshrrev_b32_e32 v42, 2, v42
	v_cmp_eq_u32_e64 s0, 3, v64
	s_delay_alu instid0(VALU_DEP_4)
	v_and_b32_e32 v66, 7, v44
	s_wait_alu 0xfffd
	v_cndmask_b32_e32 v46, v70, v46, vcc_lo
	v_cmp_gt_i32_e32 vcc_lo, 1, v49
	v_lshrrev_b32_e32 v44, 2, v44
	v_cmp_lt_i32_e64 s1, 5, v66
	v_cmp_eq_u32_e64 s2, 3, v66
	s_wait_alu 0xfffd
	v_cndmask_b32_e32 v48, v72, v48, vcc_lo
	v_cmp_gt_i32_e32 vcc_lo, 1, v51
	s_delay_alu instid0(VALU_DEP_2)
	v_and_b32_e32 v68, 7, v48
	s_wait_alu 0xfffd
	v_cndmask_b32_e32 v50, v74, v50, vcc_lo
	v_cmp_gt_i32_e32 vcc_lo, 1, v53
	v_lshrrev_b32_e32 v48, 2, v48
	v_cmp_lt_i32_e64 s5, 5, v68
	v_cmp_eq_u32_e64 s6, 3, v68
	s_wait_alu 0xfffd
	v_cndmask_b32_e32 v52, v76, v52, vcc_lo
	v_cmp_gt_i32_e32 vcc_lo, 1, v55
	s_delay_alu instid0(VALU_DEP_2)
	;; [unrolled: 11-line block ×3, first 2 shown]
	v_and_b32_e32 v72, 7, v56
	s_wait_alu 0xfffd
	v_cndmask_b32_e32 v58, v82, v58, vcc_lo
	v_cmp_gt_i32_e32 vcc_lo, 1, v61
	v_lshrrev_b32_e32 v56, 2, v56
	v_cmp_lt_i32_e64 s13, 5, v72
	v_cmp_eq_u32_e64 s14, 3, v72
	s_wait_alu 0xfffd
	v_cndmask_b32_e32 v60, v84, v60, vcc_lo
	v_cmp_lt_i32_e32 vcc_lo, 5, v64
	s_delay_alu instid0(VALU_DEP_2)
	v_and_b32_e32 v74, 7, v60
	s_or_b32 vcc_lo, s0, vcc_lo
	v_lshrrev_b32_e32 v60, 2, v60
	s_wait_alu 0xfffe
	v_add_co_ci_u32_e32 v42, vcc_lo, 0, v42, vcc_lo
	s_or_b32 vcc_lo, s2, s1
	v_cmp_lt_i32_e64 s17, 5, v74
	s_wait_alu 0xfffe
	v_add_co_ci_u32_e32 v44, vcc_lo, 0, v44, vcc_lo
	v_and_b32_e32 v67, 7, v46
	v_lshrrev_b32_e32 v46, 2, v46
	v_cmp_eq_u32_e64 s18, 3, v74
	s_delay_alu instid0(VALU_DEP_3) | instskip(SKIP_1) | instid1(VALU_DEP_1)
	v_cmp_lt_i32_e64 s3, 5, v67
	v_cmp_eq_u32_e64 s4, 3, v67
	s_or_b32 vcc_lo, s4, s3
	s_wait_alu 0xfffe
	v_add_co_ci_u32_e32 v46, vcc_lo, 0, v46, vcc_lo
	s_or_b32 vcc_lo, s6, s5
	s_wait_alu 0xfffe
	v_add_co_ci_u32_e32 v48, vcc_lo, 0, v48, vcc_lo
	v_and_b32_e32 v69, 7, v50
	v_lshrrev_b32_e32 v50, 2, v50
	s_delay_alu instid0(VALU_DEP_2) | instskip(SKIP_1) | instid1(VALU_DEP_1)
	v_cmp_lt_i32_e64 s7, 5, v69
	v_cmp_eq_u32_e64 s8, 3, v69
	s_or_b32 vcc_lo, s8, s7
	s_wait_alu 0xfffe
	v_add_co_ci_u32_e32 v50, vcc_lo, 0, v50, vcc_lo
	s_or_b32 vcc_lo, s10, s9
	s_wait_alu 0xfffe
	v_add_co_ci_u32_e32 v52, vcc_lo, 0, v52, vcc_lo
	v_and_b32_e32 v71, 7, v54
	v_lshrrev_b32_e32 v54, 2, v54
	s_delay_alu instid0(VALU_DEP_2) | instskip(SKIP_1) | instid1(VALU_DEP_1)
	;; [unrolled: 11-line block ×3, first 2 shown]
	v_cmp_lt_i32_e64 s15, 5, v73
	v_cmp_eq_u32_e64 s16, 3, v73
	s_or_b32 vcc_lo, s16, s15
	s_wait_alu 0xfffe
	v_add_co_ci_u32_e32 v58, vcc_lo, 0, v58, vcc_lo
	s_or_b32 vcc_lo, s18, s17
	s_wait_alu 0xfffe
	v_add_co_ci_u32_e32 v60, vcc_lo, 0, v60, vcc_lo
	v_cmp_gt_i32_e32 vcc_lo, 31, v43
	s_wait_alu 0xfffd
	v_cndmask_b32_e32 v42, 0x7c00, v42, vcc_lo
	v_cmp_gt_i32_e32 vcc_lo, 31, v45
	s_wait_alu 0xfffd
	v_cndmask_b32_e32 v44, 0x7c00, v44, vcc_lo
	;; [unrolled: 3-line block ×10, first 2 shown]
	v_cmp_eq_u32_e32 vcc_lo, 0x40f, v43
	s_wait_alu 0xfffd
	v_cndmask_b32_e32 v21, v42, v21, vcc_lo
	v_cmp_eq_u32_e32 vcc_lo, 0x40f, v45
	s_delay_alu instid0(VALU_DEP_2) | instskip(SKIP_3) | instid1(VALU_DEP_2)
	v_and_or_b32 v21, 0x8000, v22, v21
	s_wait_alu 0xfffd
	v_cndmask_b32_e32 v1, v44, v1, vcc_lo
	v_cmp_eq_u32_e32 vcc_lo, 0x40f, v47
	v_and_or_b32 v1, 0x8000, v2, v1
	s_wait_alu 0xfffd
	v_cndmask_b32_e32 v11, v46, v11, vcc_lo
	v_cmp_eq_u32_e32 vcc_lo, 0x40f, v49
	s_delay_alu instid0(VALU_DEP_2) | instskip(SKIP_3) | instid1(VALU_DEP_3)
	v_and_or_b32 v2, 0x8000, v12, v11
	s_wait_alu 0xfffd
	v_cndmask_b32_e32 v13, v48, v13, vcc_lo
	v_cmp_eq_u32_e32 vcc_lo, 0x40f, v51
	v_and_b32_e32 v2, 0xffff, v2
	s_delay_alu instid0(VALU_DEP_3)
	v_and_or_b32 v11, 0x8000, v14, v13
	s_wait_alu 0xfffd
	v_cndmask_b32_e32 v7, v50, v7, vcc_lo
	v_cmp_eq_u32_e32 vcc_lo, 0x40f, v53
	v_and_b32_e32 v13, 0xffff, v21
	v_lshl_or_b32 v2, v11, 16, v2
	s_delay_alu instid0(VALU_DEP_4)
	v_and_or_b32 v7, 0x8000, v8, v7
	s_wait_alu 0xfffd
	v_cndmask_b32_e32 v17, v52, v17, vcc_lo
	v_cmp_eq_u32_e32 vcc_lo, 0x40f, v55
	v_lshl_or_b32 v1, v1, 16, v13
	v_and_b32_e32 v7, 0xffff, v7
	s_delay_alu instid0(VALU_DEP_4)
	v_and_or_b32 v8, 0x8000, v18, v17
	s_wait_alu 0xfffd
	v_cndmask_b32_e32 v23, v54, v23, vcc_lo
	v_cmp_eq_u32_e32 vcc_lo, 0x40f, v57
	v_lshrrev_b32_e32 v18, 16, v4
	v_lshl_or_b32 v7, v8, 16, v7
	s_delay_alu instid0(VALU_DEP_4)
	v_and_or_b32 v12, 0x8000, v24, v23
	s_wait_alu 0xfffd
	v_cndmask_b32_e32 v25, v56, v25, vcc_lo
	s_clause 0x2
	global_store_b32 v[9:10], v1, off
	global_store_b32 v[15:16], v2, off
	global_store_b32 v[19:20], v7, off
	v_sub_nc_u32_e32 v1, 0x3f1, v65
	v_or_b32_e32 v10, 0x1000, v36
	v_and_b32_e32 v12, 0xffff, v12
	v_and_or_b32 v14, 0x8000, v26, v25
	v_cmp_eq_u32_e32 vcc_lo, 0x40f, v59
	v_med3_i32 v13, v1, 0, 13
	v_lshl_or_b32 v7, v32, 9, 0x7c00
	v_mul_f64_e32 v[1:2], s[22:23], v[38:39]
	v_lshl_or_b32 v12, v14, 16, v12
	s_wait_alu 0xfffd
	v_cndmask_b32_e32 v11, v58, v30, vcc_lo
	v_lshrrev_b32_e32 v16, v13, v10
	v_lshrrev_b32_e32 v15, 16, v33
	;; [unrolled: 1-line block ×3, first 2 shown]
	global_store_b32 v[27:28], v12, off
	v_and_or_b32 v11, 0x8000, v31, v11
	v_lshlrev_b32_e32 v12, v13, v16
	s_wait_loadcnt 0x2
	v_lshrrev_b32_e32 v25, 16, v3
	s_delay_alu instid0(VALU_DEP_3) | instskip(NEXT) | instid1(VALU_DEP_3)
	v_and_b32_e32 v19, 0xffff, v11
	v_cmp_ne_u32_e64 s1, v12, v10
	s_wait_alu 0xf1ff
	s_delay_alu instid0(VALU_DEP_1) | instskip(NEXT) | instid1(VALU_DEP_1)
	v_cndmask_b32_e64 v12, 0, 1, s1
	v_or_b32_e32 v12, v16, v12
	v_add_nc_u32_e32 v63, 0xfffffc10, v63
	s_delay_alu instid0(VALU_DEP_1) | instskip(SKIP_2) | instid1(VALU_DEP_2)
	v_lshl_or_b32 v86, v63, 12, v34
	v_cmp_gt_i32_e32 vcc_lo, 1, v63
	s_wait_alu 0xfffd
	v_cndmask_b32_e32 v9, v86, v62, vcc_lo
	v_cmp_eq_u32_e32 vcc_lo, 0x40f, v61
	v_bfe_u32 v21, v2, 20, 11
	s_wait_alu 0xfffd
	v_cndmask_b32_e32 v14, v60, v7, vcc_lo
	ds_load_2addr_b32 v[7:8], v0 offset0:106 offset1:176
	v_and_b32_e32 v0, 7, v9
	v_and_or_b32 v13, 0x8000, v15, v14
	v_add_nc_u32_e32 v14, 0xfffffc10, v65
	s_delay_alu instid0(VALU_DEP_3) | instskip(SKIP_4) | instid1(VALU_DEP_4)
	v_cmp_lt_i32_e32 vcc_lo, 5, v0
	v_cmp_eq_u32_e64 s0, 3, v0
	v_lshrrev_b32_e32 v0, 2, v9
	v_mul_f64_e32 v[9:10], s[22:23], v[40:41]
	v_lshl_or_b32 v15, v14, 12, v36
	s_or_b32 vcc_lo, s0, vcc_lo
	s_wait_alu 0xfffe
	v_add_co_ci_u32_e32 v0, vcc_lo, 0, v0, vcc_lo
	v_cmp_ne_u32_e32 vcc_lo, 0, v34
	s_wait_dscnt 0x0
	v_lshrrev_b32_e32 v17, 16, v7
	s_wait_alu 0xfffd
	v_cndmask_b32_e64 v16, 0, 1, vcc_lo
	v_cmp_gt_i32_e32 vcc_lo, 1, v14
	s_wait_alu 0xfffd
	v_cndmask_b32_e32 v12, v15, v12, vcc_lo
	v_cmp_gt_i32_e32 vcc_lo, 31, v63
	v_lshl_or_b32 v15, v16, 9, 0x7c00
	v_mul_f16_e32 v16, v17, v18
	s_delay_alu instid0(VALU_DEP_4)
	v_and_b32_e32 v11, 7, v12
	s_wait_alu 0xfffd
	v_cndmask_b32_e32 v0, 0x7c00, v0, vcc_lo
	v_cmp_eq_u32_e32 vcc_lo, 0x40f, v63
	v_fmac_f16_e32 v16, v7, v4
	v_lshrrev_b32_e32 v12, 2, v12
	v_cmp_eq_u32_e64 s0, 3, v11
	v_mul_f16_e32 v7, v7, v18
	s_wait_alu 0xfffd
	v_cndmask_b32_e32 v15, v0, v15, vcc_lo
	v_and_or_b32 v0, 0x1ff, v2, v1
	v_cvt_f32_f16_e32 v1, v16
	v_cmp_lt_i32_e32 vcc_lo, 5, v11
	v_lshrrev_b32_e32 v16, 8, v2
	v_and_or_b32 v15, 0x8000, v20, v15
	v_cmp_ne_u32_e64 s1, 0, v0
	v_cvt_f64_f32_e32 v[0:1], v1
	s_or_b32 vcc_lo, s0, vcc_lo
	v_and_or_b32 v9, 0x1ff, v10, v9
	s_wait_alu 0xfffe
	v_add_co_ci_u32_e32 v12, vcc_lo, 0, v12, vcc_lo
	v_cndmask_b32_e64 v11, 0, 1, s1
	v_cmp_gt_i32_e32 vcc_lo, 31, v14
	v_fma_f16 v4, v4, v17, -v7
	v_lshrrev_b32_e32 v24, 8, v10
	v_bfe_u32 v18, v10, 20, 11
	v_and_or_b32 v16, 0xffe, v16, v11
	v_sub_nc_u32_e32 v11, 0x3f1, v21
	s_wait_alu 0xfffd
	v_cndmask_b32_e32 v12, 0x7c00, v12, vcc_lo
	v_cmp_ne_u32_e32 vcc_lo, 0, v36
	v_cvt_f32_f16_e32 v4, v4
	v_or_b32_e32 v20, 0x1000, v16
	v_med3_i32 v11, v11, 0, 13
	v_sub_nc_u32_e32 v7, 0x3f1, v18
	s_wait_alu 0xfffd
	v_cndmask_b32_e64 v22, 0, 1, vcc_lo
	v_cmp_ne_u32_e32 vcc_lo, 0, v9
	v_and_b32_e32 v15, 0xffff, v15
	v_lshrrev_b32_e32 v23, v11, v20
	v_med3_i32 v7, v7, 0, 13
	v_lshl_or_b32 v22, v22, 9, 0x7c00
	s_wait_alu 0xfffd
	v_cndmask_b32_e64 v9, 0, 1, vcc_lo
	v_lshrrev_b32_e32 v2, 16, v2
	v_lshlrev_b32_e32 v11, v11, v23
	s_delay_alu instid0(VALU_DEP_3) | instskip(NEXT) | instid1(VALU_DEP_2)
	v_and_or_b32 v9, 0xffe, v24, v9
	v_cmp_ne_u32_e32 vcc_lo, v11, v20
	v_add_nc_u32_e32 v20, 0xfffffc10, v21
	s_delay_alu instid0(VALU_DEP_3)
	v_or_b32_e32 v21, 0x1000, v9
	s_wait_alu 0xfffd
	v_cndmask_b32_e64 v17, 0, 1, vcc_lo
	v_cmp_eq_u32_e32 vcc_lo, 0x40f, v14
	v_mul_f64_e32 v[0:1], s[22:23], v[0:1]
	s_wait_alu 0xfffd
	v_cndmask_b32_e32 v14, v12, v22, vcc_lo
	v_cvt_f64_f32_e32 v[11:12], v4
	v_lshrrev_b32_e32 v22, v7, v21
	v_or_b32_e32 v4, v23, v17
	v_lshl_or_b32 v17, v20, 12, v16
	v_cmp_gt_i32_e32 vcc_lo, 1, v20
	v_lshrrev_b32_e32 v23, 16, v37
	s_wait_alu 0xfffd
	s_delay_alu instid0(VALU_DEP_3) | instskip(NEXT) | instid1(VALU_DEP_2)
	v_dual_cndmask_b32 v4, v17, v4 :: v_dual_lshlrev_b32 v7, v7, v22
	v_and_or_b32 v17, 0x8000, v23, v14
	s_delay_alu instid0(VALU_DEP_2)
	v_cmp_ne_u32_e32 vcc_lo, v7, v21
	v_add_nc_u32_e32 v21, 0xfffffc10, v18
	v_lshl_or_b32 v19, v13, 16, v19
	v_and_b32_e32 v23, 7, v4
	v_lshl_or_b32 v24, v17, 16, v15
	s_wait_alu 0xfffd
	v_cndmask_b32_e64 v7, 0, 1, vcc_lo
	v_add_co_u32 v13, vcc_lo, v27, s20
	v_lshl_or_b32 v15, v21, 12, v9
	v_cmp_gt_i32_e64 s1, 1, v21
	s_delay_alu instid0(VALU_DEP_4)
	v_or_b32_e32 v7, v22, v7
	v_lshrrev_b32_e32 v22, 16, v8
	s_wait_alu 0xfffd
	v_add_co_ci_u32_e32 v14, vcc_lo, s21, v28, vcc_lo
	v_cmp_lt_i32_e32 vcc_lo, 5, v23
	v_cmp_eq_u32_e64 s0, 3, v23
	v_lshrrev_b32_e32 v4, 2, v4
	s_wait_alu 0xf1ff
	v_cndmask_b32_e64 v7, v15, v7, s1
	v_mul_f16_e32 v15, v22, v25
	s_or_b32 vcc_lo, s0, vcc_lo
	s_wait_alu 0xfffe
	v_add_co_ci_u32_e32 v4, vcc_lo, 0, v4, vcc_lo
	v_cmp_ne_u32_e32 vcc_lo, 0, v16
	v_fmac_f16_e32 v15, v8, v3
	v_and_or_b32 v0, 0x1ff, v1, v0
	v_mul_f64_e32 v[11:12], s[22:23], v[11:12]
	v_and_b32_e32 v17, 7, v7
	s_wait_alu 0xfffd
	v_cndmask_b32_e64 v16, 0, 1, vcc_lo
	v_cvt_f32_f16_e32 v15, v15
	v_cmp_gt_i32_e32 vcc_lo, 31, v20
	v_cmp_ne_u32_e64 s1, 0, v0
	v_cmp_eq_u32_e64 s0, 3, v17
	v_lshl_or_b32 v18, v16, 9, 0x7c00
	v_cvt_f64_f32_e32 v[15:16], v15
	s_wait_alu 0xfffd
	v_cndmask_b32_e32 v4, 0x7c00, v4, vcc_lo
	v_cmp_lt_i32_e32 vcc_lo, 5, v17
	s_wait_alu 0xf1ff
	v_cndmask_b32_e64 v0, 0, 1, s1
	v_lshrrev_b32_e32 v17, 8, v1
	v_bfe_u32 v23, v1, 20, 11
	v_lshrrev_b32_e32 v7, 2, v7
	s_or_b32 vcc_lo, s0, vcc_lo
	v_cmp_eq_u32_e64 s1, 0x40f, v20
	v_and_or_b32 v0, 0xffe, v17, v0
	v_sub_nc_u32_e32 v17, 0x3f1, v23
	s_wait_alu 0xfffe
	v_add_co_ci_u32_e32 v7, vcc_lo, 0, v7, vcc_lo
	v_cmp_ne_u32_e32 vcc_lo, 0, v9
	v_or_b32_e32 v20, 0x1000, v0
	v_med3_i32 v26, v17, 0, 13
	s_wait_alu 0xf1ff
	v_cndmask_b32_e64 v4, v4, v18, s1
	v_lshrrev_b32_e32 v1, 16, v1
	s_wait_alu 0xfffd
	v_cndmask_b32_e64 v9, 0, 1, vcc_lo
	v_cmp_gt_i32_e32 vcc_lo, 31, v21
	v_lshrrev_b32_e32 v27, v26, v20
	v_and_or_b32 v4, 0x8000, v2, v4
	s_delay_alu instid0(VALU_DEP_4)
	v_lshl_or_b32 v9, v9, 9, 0x7c00
	s_wait_alu 0xfffd
	v_cndmask_b32_e32 v7, 0x7c00, v7, vcc_lo
	v_add_co_u32 v17, vcc_lo, v13, s20
	s_wait_alu 0xfffd
	v_add_co_ci_u32_e32 v18, vcc_lo, s21, v14, vcc_lo
	v_lshlrev_b32_e32 v2, v26, v27
	v_cmp_eq_u32_e32 vcc_lo, 0x40f, v21
	s_wait_alu 0xfffd
	v_dual_cndmask_b32 v21, v7, v9 :: v_dual_and_b32 v4, 0xffff, v4
	v_and_or_b32 v7, 0x1ff, v12, v11
	v_cmp_ne_u32_e32 vcc_lo, v2, v20
	v_mul_f16_e32 v2, v8, v25
	v_lshrrev_b32_e32 v11, 16, v10
	v_lshrrev_b32_e32 v20, 8, v12
	v_bfe_u32 v25, v12, 20, 11
	s_wait_alu 0xfffd
	v_cndmask_b32_e64 v9, 0, 1, vcc_lo
	v_cmp_ne_u32_e32 vcc_lo, 0, v7
	v_mul_f64_e32 v[7:8], s[22:23], v[15:16]
	v_fma_f16 v2, v3, v22, -v2
	v_add_nc_u32_e32 v3, 0x800, v29
	v_add_nc_u32_e32 v22, 0xfffffc10, v23
	s_wait_alu 0xfffd
	v_cndmask_b32_e64 v10, 0, 1, vcc_lo
	v_or_b32_e32 v16, v27, v9
	v_cvt_f32_f16_e32 v15, v2
	ds_load_2addr_b32 v[2:3], v3 offset0:118 offset1:188
	v_lshl_or_b32 v23, v22, 12, v0
	v_and_or_b32 v20, 0xffe, v20, v10
	v_sub_nc_u32_e32 v10, 0x3f1, v25
	v_cmp_gt_i32_e32 vcc_lo, 1, v22
	v_and_or_b32 v11, 0x8000, v11, v21
	global_store_b32 v[13:14], v19, off
	global_store_b32 v[17:18], v24, off
	v_or_b32_e32 v26, 0x1000, v20
	v_med3_i32 v27, v10, 0, 13
	v_cvt_f64_f32_e32 v[9:10], v15
	s_wait_alu 0xfffd
	v_cndmask_b32_e32 v15, v23, v16, vcc_lo
	v_lshl_or_b32 v19, v11, 16, v4
	v_add_co_u32 v13, vcc_lo, v17, s20
	v_lshrrev_b32_e32 v16, v27, v26
	s_delay_alu instid0(VALU_DEP_4)
	v_and_b32_e32 v4, 7, v15
	s_wait_alu 0xfffd
	v_add_co_ci_u32_e32 v14, vcc_lo, s21, v18, vcc_lo
	s_wait_loadcnt 0x1
	v_lshrrev_b32_e32 v18, 16, v5
	v_lshlrev_b32_e32 v11, v27, v16
	s_wait_dscnt 0x0
	v_lshrrev_b32_e32 v17, 16, v2
	v_cmp_lt_i32_e32 vcc_lo, 5, v4
	v_add_nc_u32_e32 v21, 0xfffffc10, v25
	v_cmp_eq_u32_e64 s1, 0x40f, v22
	v_cmp_ne_u32_e64 s0, v11, v26
	v_mul_f16_e32 v23, v17, v18
	v_lshrrev_b32_e32 v12, 16, v12
	s_wait_alu 0xf1ff
	s_delay_alu instid0(VALU_DEP_3)
	v_cndmask_b32_e64 v11, 0, 1, s0
	v_cmp_eq_u32_e64 s0, 3, v4
	v_lshrrev_b32_e32 v4, 2, v15
	v_lshl_or_b32 v15, v21, 12, v20
	v_fmac_f16_e32 v23, v2, v5
	v_or_b32_e32 v11, v16, v11
	s_or_b32 vcc_lo, s0, vcc_lo
	v_and_or_b32 v7, 0x1ff, v8, v7
	s_wait_alu 0xfffe
	v_add_co_ci_u32_e32 v4, vcc_lo, 0, v4, vcc_lo
	v_cmp_gt_i32_e32 vcc_lo, 1, v21
	v_cvt_f32_f16_e32 v16, v23
	v_lshrrev_b32_e32 v23, 8, v8
	v_bfe_u32 v24, v8, 20, 11
	v_mul_f16_e32 v2, v2, v18
	s_wait_alu 0xfffd
	v_cndmask_b32_e32 v11, v15, v11, vcc_lo
	v_cmp_ne_u32_e32 vcc_lo, 0, v7
	v_cvt_f64_f32_e32 v[15:16], v16
	v_mul_f64_e32 v[9:10], s[22:23], v[9:10]
	v_fma_f16 v2, v5, v17, -v2
	v_and_b32_e32 v25, 7, v11
	s_wait_alu 0xfffd
	v_cndmask_b32_e64 v7, 0, 1, vcc_lo
	v_cmp_ne_u32_e32 vcc_lo, 0, v0
	v_lshrrev_b32_e32 v11, 2, v11
	v_cvt_f32_f16_e32 v2, v2
	v_cmp_eq_u32_e64 s0, 3, v25
	v_and_or_b32 v7, 0xffe, v23, v7
	s_wait_alu 0xfffd
	v_cndmask_b32_e64 v0, 0, 1, vcc_lo
	v_cmp_gt_i32_e32 vcc_lo, 31, v22
	v_sub_nc_u32_e32 v23, 0x3f1, v24
	v_add_nc_u32_e32 v24, 0xfffffc10, v24
	v_or_b32_e32 v26, 0x1000, v7
	v_lshl_or_b32 v0, v0, 9, 0x7c00
	s_wait_alu 0xfffd
	v_cndmask_b32_e32 v4, 0x7c00, v4, vcc_lo
	v_cmp_lt_i32_e32 vcc_lo, 5, v25
	v_med3_i32 v23, v23, 0, 13
	v_lshl_or_b32 v18, v24, 12, v7
	v_lshrrev_b32_e32 v17, 16, v3
	v_cndmask_b32_e64 v0, v4, v0, s1
	s_or_b32 vcc_lo, s0, vcc_lo
	v_lshrrev_b32_e32 v4, v23, v26
	s_wait_alu 0xfffe
	v_add_co_ci_u32_e32 v11, vcc_lo, 0, v11, vcc_lo
	v_cmp_ne_u32_e32 vcc_lo, 0, v20
	v_lshrrev_b32_e32 v8, 16, v8
	v_lshlrev_b32_e32 v22, v23, v4
	v_and_or_b32 v23, 0x8000, v1, v0
	s_wait_alu 0xfffd
	v_cndmask_b32_e64 v20, 0, 1, vcc_lo
	v_cmp_gt_i32_e32 vcc_lo, 31, v21
	s_delay_alu instid0(VALU_DEP_2)
	v_lshl_or_b32 v20, v20, 9, 0x7c00
	s_wait_alu 0xfffd
	v_cndmask_b32_e32 v11, 0x7c00, v11, vcc_lo
	v_cmp_ne_u32_e32 vcc_lo, v22, v26
	v_mul_f64_e32 v[0:1], s[22:23], v[15:16]
	v_and_or_b32 v9, 0x1ff, v10, v9
	v_lshrrev_b32_e32 v5, 8, v10
	s_wait_alu 0xfffd
	v_cndmask_b32_e64 v22, 0, 1, vcc_lo
	v_cmp_eq_u32_e32 vcc_lo, 0x40f, v21
	s_delay_alu instid0(VALU_DEP_2) | instskip(SKIP_4) | instid1(VALU_DEP_3)
	v_or_b32_e32 v4, v4, v22
	s_wait_alu 0xfffd
	v_cndmask_b32_e32 v11, v11, v20, vcc_lo
	v_cmp_gt_i32_e32 vcc_lo, 1, v24
	v_and_b32_e32 v20, 0xffff, v23
	v_and_or_b32 v11, 0x8000, v12, v11
	s_wait_alu 0xfffd
	v_cndmask_b32_e32 v15, v18, v4, vcc_lo
	v_cmp_ne_u32_e32 vcc_lo, 0, v9
	v_bfe_u32 v9, v10, 20, 11
	s_wait_loadcnt 0x0
	v_lshrrev_b32_e32 v18, 16, v6
	v_lshl_or_b32 v20, v11, 16, v20
	v_and_b32_e32 v12, 7, v15
	s_wait_alu 0xfffd
	v_cndmask_b32_e64 v4, 0, 1, vcc_lo
	v_lshrrev_b32_e32 v11, 2, v15
	v_mul_f16_e32 v22, v17, v18
	v_lshrrev_b32_e32 v10, 16, v10
	v_cmp_lt_i32_e32 vcc_lo, 5, v12
	v_and_or_b32 v16, 0xffe, v5, v4
	v_cvt_f64_f32_e32 v[4:5], v2
	v_sub_nc_u32_e32 v2, 0x3f1, v9
	v_cmp_eq_u32_e64 s0, 3, v12
	v_fmac_f16_e32 v22, v3, v6
	v_or_b32_e32 v21, 0x1000, v16
	v_mul_f16_e32 v3, v3, v18
	v_med3_i32 v2, v2, 0, 13
	s_or_b32 vcc_lo, s0, vcc_lo
	v_cvt_f32_f16_e32 v12, v22
	s_wait_alu 0xfffe
	v_add_co_ci_u32_e32 v11, vcc_lo, 0, v11, vcc_lo
	v_lshrrev_b32_e32 v15, v2, v21
	v_cmp_ne_u32_e32 vcc_lo, 0, v7
	v_and_or_b32 v0, 0x1ff, v1, v0
	v_bfe_u32 v18, v1, 20, 11
	v_fma_f16 v6, v6, v17, -v3
	v_lshlrev_b32_e32 v2, v2, v15
	s_wait_alu 0xfffd
	v_cndmask_b32_e64 v7, 0, 1, vcc_lo
	v_cmp_gt_i32_e32 vcc_lo, 31, v24
	s_delay_alu instid0(VALU_DEP_2)
	v_lshl_or_b32 v7, v7, 9, 0x7c00
	s_wait_alu 0xfffd
	v_cndmask_b32_e32 v22, 0x7c00, v11, vcc_lo
	v_cmp_ne_u32_e32 vcc_lo, v2, v21
	v_cvt_f64_f32_e32 v[11:12], v12
	v_add_nc_u32_e32 v21, 0xfffffc10, v9
	v_lshrrev_b32_e32 v9, 8, v1
	v_lshrrev_b32_e32 v1, 16, v1
	s_wait_alu 0xfffd
	v_cndmask_b32_e64 v2, 0, 1, vcc_lo
	v_cmp_ne_u32_e32 vcc_lo, 0, v0
	v_lshl_or_b32 v17, v21, 12, v16
	s_delay_alu instid0(VALU_DEP_3)
	v_or_b32_e32 v15, v15, v2
	s_wait_alu 0xfffd
	v_cndmask_b32_e64 v0, 0, 1, vcc_lo
	v_cmp_gt_i32_e32 vcc_lo, 1, v21
	v_mul_f64_e32 v[2:3], s[22:23], v[4:5]
	v_sub_nc_u32_e32 v4, 0x3f1, v18
	s_delay_alu instid0(VALU_DEP_4)
	v_and_or_b32 v0, 0xffe, v9, v0
	s_wait_alu 0xfffd
	v_cndmask_b32_e32 v9, v17, v15, vcc_lo
	v_cvt_f32_f16_e32 v5, v6
	v_cmp_eq_u32_e32 vcc_lo, 0x40f, v24
	v_med3_i32 v17, v4, 0, 13
	v_or_b32_e32 v15, 0x1000, v0
	v_and_b32_e32 v23, 7, v9
	v_cvt_f64_f32_e32 v[4:5], v5
	s_delay_alu instid0(VALU_DEP_3) | instskip(NEXT) | instid1(VALU_DEP_3)
	v_lshrrev_b32_e32 v24, v17, v15
	v_cmp_eq_u32_e64 s0, 3, v23
	s_wait_alu 0xfffd
	s_delay_alu instid0(VALU_DEP_2)
	v_dual_cndmask_b32 v22, v22, v7 :: v_dual_lshlrev_b32 v17, v17, v24
	v_add_co_u32 v6, vcc_lo, v13, s20
	s_wait_alu 0xfffd
	v_add_co_ci_u32_e32 v7, vcc_lo, s21, v14, vcc_lo
	v_cmp_lt_i32_e32 vcc_lo, 5, v23
	v_lshrrev_b32_e32 v23, 2, v9
	v_and_or_b32 v22, 0x8000, v8, v22
	v_mul_f64_e32 v[8:9], s[22:23], v[11:12]
	v_cmp_ne_u32_e64 s1, v17, v15
	s_or_b32 vcc_lo, s0, vcc_lo
	v_add_nc_u32_e32 v17, 0xfffffc10, v18
	s_wait_alu 0xfffe
	v_add_co_ci_u32_e32 v11, vcc_lo, 0, v23, vcc_lo
	v_cmp_ne_u32_e32 vcc_lo, 0, v16
	v_cndmask_b32_e64 v15, 0, 1, s1
	v_lshl_or_b32 v16, v17, 12, v0
	s_wait_alu 0xfffd
	v_cndmask_b32_e64 v12, 0, 1, vcc_lo
	v_cmp_gt_i32_e32 vcc_lo, 31, v21
	v_or_b32_e32 v15, v24, v15
	v_and_or_b32 v2, 0x1ff, v3, v2
	v_bfe_u32 v18, v3, 20, 11
	v_lshl_or_b32 v12, v12, 9, 0x7c00
	s_wait_alu 0xfffd
	v_cndmask_b32_e32 v11, 0x7c00, v11, vcc_lo
	v_cmp_gt_i32_e32 vcc_lo, 1, v17
	v_mul_f64_e32 v[4:5], s[22:23], v[4:5]
	s_wait_alu 0xfffd
	v_cndmask_b32_e32 v15, v16, v15, vcc_lo
	v_cmp_eq_u32_e32 vcc_lo, 0x40f, v21
	v_lshrrev_b32_e32 v16, 8, v3
	v_lshrrev_b32_e32 v3, 16, v3
	s_wait_alu 0xfffd
	v_cndmask_b32_e32 v11, v11, v12, vcc_lo
	v_cmp_ne_u32_e32 vcc_lo, 0, v2
	v_and_b32_e32 v12, 7, v15
	s_delay_alu instid0(VALU_DEP_3)
	v_and_or_b32 v10, 0x8000, v10, v11
	v_and_b32_e32 v11, 0xffff, v22
	s_wait_alu 0xfffd
	v_cndmask_b32_e64 v2, 0, 1, vcc_lo
	v_cmp_lt_i32_e32 vcc_lo, 5, v12
	v_cmp_eq_u32_e64 s0, 3, v12
	v_and_or_b32 v8, 0x1ff, v9, v8
	v_lshl_or_b32 v10, v10, 16, v11
	v_lshrrev_b32_e32 v11, 2, v15
	v_and_or_b32 v2, 0xffe, v16, v2
	v_sub_nc_u32_e32 v16, 0x3f1, v18
	s_or_b32 vcc_lo, s0, vcc_lo
	v_lshrrev_b32_e32 v21, 8, v9
	s_wait_alu 0xfffe
	v_add_co_ci_u32_e32 v11, vcc_lo, 0, v11, vcc_lo
	v_or_b32_e32 v12, 0x1000, v2
	v_med3_i32 v15, v16, 0, 13
	v_cmp_ne_u32_e32 vcc_lo, 0, v0
	v_bfe_u32 v22, v9, 20, 11
	v_lshrrev_b32_e32 v9, 16, v9
	s_delay_alu instid0(VALU_DEP_4) | instskip(SKIP_3) | instid1(VALU_DEP_3)
	v_lshrrev_b32_e32 v16, v15, v12
	s_wait_alu 0xfffd
	v_cndmask_b32_e64 v0, 0, 1, vcc_lo
	v_cmp_gt_i32_e32 vcc_lo, 31, v17
	v_lshlrev_b32_e32 v15, v15, v16
	s_delay_alu instid0(VALU_DEP_3)
	v_lshl_or_b32 v0, v0, 9, 0x7c00
	s_wait_alu 0xfffd
	v_cndmask_b32_e32 v11, 0x7c00, v11, vcc_lo
	v_cmp_ne_u32_e32 vcc_lo, 0, v8
	v_and_or_b32 v4, 0x1ff, v5, v4
	s_wait_alu 0xfffd
	v_cndmask_b32_e64 v8, 0, 1, vcc_lo
	v_cmp_ne_u32_e32 vcc_lo, v15, v12
	v_add_nc_u32_e32 v15, 0xfffffc10, v18
	v_sub_nc_u32_e32 v18, 0x3f1, v22
	s_delay_alu instid0(VALU_DEP_4)
	v_and_or_b32 v8, 0xffe, v21, v8
	s_wait_alu 0xfffd
	v_cndmask_b32_e64 v12, 0, 1, vcc_lo
	v_cmp_eq_u32_e32 vcc_lo, 0x40f, v17
	v_med3_i32 v17, v18, 0, 13
	v_lshrrev_b32_e32 v18, 8, v5
	v_bfe_u32 v21, v5, 20, 11
	v_lshrrev_b32_e32 v5, 16, v5
	s_wait_alu 0xfffd
	v_cndmask_b32_e32 v0, v11, v0, vcc_lo
	v_or_b32_e32 v11, v16, v12
	v_lshl_or_b32 v12, v15, 12, v2
	v_or_b32_e32 v16, 0x1000, v8
	v_cmp_gt_i32_e32 vcc_lo, 1, v15
	v_and_or_b32 v0, 0x8000, v1, v0
	s_wait_alu 0xfffd
	v_cndmask_b32_e32 v11, v12, v11, vcc_lo
	v_lshrrev_b32_e32 v12, v17, v16
	v_cmp_ne_u32_e32 vcc_lo, 0, v4
	s_delay_alu instid0(VALU_DEP_3) | instskip(NEXT) | instid1(VALU_DEP_3)
	v_and_b32_e32 v23, 7, v11
	v_lshlrev_b32_e32 v17, v17, v12
	s_wait_alu 0xfffd
	v_cndmask_b32_e64 v4, 0, 1, vcc_lo
	v_lshrrev_b32_e32 v11, 2, v11
	v_cmp_lt_i32_e32 vcc_lo, 5, v23
	v_cmp_ne_u32_e64 s0, v17, v16
	s_delay_alu instid0(VALU_DEP_4)
	v_and_or_b32 v1, 0xffe, v18, v4
	v_sub_nc_u32_e32 v4, 0x3f1, v21
	v_add_nc_u32_e32 v18, 0xfffffc10, v22
	s_wait_alu 0xf1ff
	v_cndmask_b32_e64 v16, 0, 1, s0
	v_cmp_eq_u32_e64 s0, 3, v23
	v_or_b32_e32 v17, 0x1000, v1
	v_med3_i32 v4, v4, 0, 13
	v_lshl_or_b32 v22, v18, 12, v8
	v_or_b32_e32 v12, v12, v16
	s_or_b32 vcc_lo, s0, vcc_lo
	s_wait_alu 0xfffe
	v_add_co_ci_u32_e32 v11, vcc_lo, 0, v11, vcc_lo
	v_lshrrev_b32_e32 v16, v4, v17
	v_cmp_gt_i32_e32 vcc_lo, 1, v18
	s_delay_alu instid0(VALU_DEP_2)
	v_lshlrev_b32_e32 v4, v4, v16
	s_wait_alu 0xfffd
	v_cndmask_b32_e32 v12, v22, v12, vcc_lo
	v_cmp_ne_u32_e32 vcc_lo, 0, v2
	s_wait_alu 0xfffd
	v_cndmask_b32_e64 v2, 0, 1, vcc_lo
	v_cmp_ne_u32_e32 vcc_lo, v4, v17
	v_add_nc_u32_e32 v17, 0xfffffc10, v21
	v_and_b32_e32 v21, 7, v12
	s_delay_alu instid0(VALU_DEP_4)
	v_lshl_or_b32 v2, v2, 9, 0x7c00
	s_wait_alu 0xfffd
	v_cndmask_b32_e64 v4, 0, 1, vcc_lo
	v_cmp_gt_i32_e32 vcc_lo, 31, v15
	v_cmp_gt_i32_e64 s1, 1, v17
	v_cmp_eq_u32_e64 s0, 3, v21
	s_delay_alu instid0(VALU_DEP_4)
	v_or_b32_e32 v4, v16, v4
	s_wait_alu 0xfffd
	v_cndmask_b32_e32 v11, 0x7c00, v11, vcc_lo
	v_lshl_or_b32 v16, v17, 12, v1
	v_cmp_lt_i32_e32 vcc_lo, 5, v21
	s_wait_alu 0xf1ff
	s_delay_alu instid0(VALU_DEP_2) | instskip(SKIP_2) | instid1(VALU_DEP_1)
	v_cndmask_b32_e64 v4, v16, v4, s1
	v_cmp_eq_u32_e64 s1, 0x40f, v15
	s_or_b32 vcc_lo, s0, vcc_lo
	v_cndmask_b32_e64 v2, v11, v2, s1
	v_lshrrev_b32_e32 v11, 2, v12
	v_and_b32_e32 v12, 7, v4
	v_lshrrev_b32_e32 v4, 2, v4
	v_cmp_gt_i32_e64 s1, 31, v18
	v_and_or_b32 v2, 0x8000, v3, v2
	s_wait_alu 0xfffe
	v_add_co_ci_u32_e32 v11, vcc_lo, 0, v11, vcc_lo
	v_cmp_ne_u32_e32 vcc_lo, 0, v8
	v_cmp_eq_u32_e64 s0, 3, v12
	v_and_b32_e32 v3, 0xffff, v0
	s_wait_alu 0xf1ff
	v_cndmask_b32_e64 v11, 0x7c00, v11, s1
	s_wait_alu 0xfffd
	v_cndmask_b32_e64 v8, 0, 1, vcc_lo
	v_cmp_lt_i32_e32 vcc_lo, 5, v12
	s_delay_alu instid0(VALU_DEP_2)
	v_lshl_or_b32 v8, v8, 9, 0x7c00
	s_or_b32 vcc_lo, s0, vcc_lo
	s_wait_alu 0xfffe
	v_add_co_ci_u32_e32 v4, vcc_lo, 0, v4, vcc_lo
	v_cmp_ne_u32_e32 vcc_lo, 0, v1
	s_wait_alu 0xfffd
	v_cndmask_b32_e64 v1, 0, 1, vcc_lo
	v_cmp_eq_u32_e32 vcc_lo, 0x40f, v18
	s_delay_alu instid0(VALU_DEP_2) | instskip(SKIP_3) | instid1(VALU_DEP_2)
	v_lshl_or_b32 v1, v1, 9, 0x7c00
	s_wait_alu 0xfffd
	v_cndmask_b32_e32 v8, v11, v8, vcc_lo
	v_cmp_gt_i32_e32 vcc_lo, 31, v17
	v_and_or_b32 v8, 0x8000, v9, v8
	s_wait_alu 0xfffd
	v_cndmask_b32_e32 v4, 0x7c00, v4, vcc_lo
	v_cmp_eq_u32_e32 vcc_lo, 0x40f, v17
	v_lshl_or_b32 v9, v2, 16, v3
	s_wait_alu 0xfffd
	s_delay_alu instid0(VALU_DEP_3) | instskip(SKIP_3) | instid1(VALU_DEP_3)
	v_cndmask_b32_e32 v4, v4, v1, vcc_lo
	v_add_co_u32 v0, vcc_lo, v6, s20
	s_wait_alu 0xfffd
	v_add_co_ci_u32_e32 v1, vcc_lo, s21, v7, vcc_lo
	v_and_or_b32 v4, 0x8000, v5, v4
	v_and_b32_e32 v5, 0xffff, v8
	v_add_co_u32 v2, vcc_lo, v0, s20
	s_wait_alu 0xfffd
	v_add_co_ci_u32_e32 v3, vcc_lo, s21, v1, vcc_lo
	s_delay_alu instid0(VALU_DEP_3) | instskip(NEXT) | instid1(VALU_DEP_3)
	v_lshl_or_b32 v8, v4, 16, v5
	v_add_co_u32 v4, vcc_lo, v2, s20
	s_wait_alu 0xfffd
	s_delay_alu instid0(VALU_DEP_3)
	v_add_co_ci_u32_e32 v5, vcc_lo, s21, v3, vcc_lo
	global_store_b32 v[13:14], v19, off
	global_store_b32 v[6:7], v20, off
	;; [unrolled: 1-line block ×5, first 2 shown]
.LBB0_23:
	s_nop 0
	s_sendmsg sendmsg(MSG_DEALLOC_VGPRS)
	s_endpgm
	.section	.rodata,"a",@progbits
	.p2align	6, 0x0
	.amdhsa_kernel bluestein_single_back_len770_dim1_half_op_CI_CI
		.amdhsa_group_segment_fixed_size 6160
		.amdhsa_private_segment_fixed_size 0
		.amdhsa_kernarg_size 104
		.amdhsa_user_sgpr_count 2
		.amdhsa_user_sgpr_dispatch_ptr 0
		.amdhsa_user_sgpr_queue_ptr 0
		.amdhsa_user_sgpr_kernarg_segment_ptr 1
		.amdhsa_user_sgpr_dispatch_id 0
		.amdhsa_user_sgpr_private_segment_size 0
		.amdhsa_wavefront_size32 1
		.amdhsa_uses_dynamic_stack 0
		.amdhsa_enable_private_segment 0
		.amdhsa_system_sgpr_workgroup_id_x 1
		.amdhsa_system_sgpr_workgroup_id_y 0
		.amdhsa_system_sgpr_workgroup_id_z 0
		.amdhsa_system_sgpr_workgroup_info 0
		.amdhsa_system_vgpr_workitem_id 0
		.amdhsa_next_free_vgpr 118
		.amdhsa_next_free_sgpr 24
		.amdhsa_reserve_vcc 1
		.amdhsa_float_round_mode_32 0
		.amdhsa_float_round_mode_16_64 0
		.amdhsa_float_denorm_mode_32 3
		.amdhsa_float_denorm_mode_16_64 3
		.amdhsa_fp16_overflow 0
		.amdhsa_workgroup_processor_mode 1
		.amdhsa_memory_ordered 1
		.amdhsa_forward_progress 0
		.amdhsa_round_robin_scheduling 0
		.amdhsa_exception_fp_ieee_invalid_op 0
		.amdhsa_exception_fp_denorm_src 0
		.amdhsa_exception_fp_ieee_div_zero 0
		.amdhsa_exception_fp_ieee_overflow 0
		.amdhsa_exception_fp_ieee_underflow 0
		.amdhsa_exception_fp_ieee_inexact 0
		.amdhsa_exception_int_div_zero 0
	.end_amdhsa_kernel
	.text
.Lfunc_end0:
	.size	bluestein_single_back_len770_dim1_half_op_CI_CI, .Lfunc_end0-bluestein_single_back_len770_dim1_half_op_CI_CI
                                        ; -- End function
	.section	.AMDGPU.csdata,"",@progbits
; Kernel info:
; codeLenInByte = 18892
; NumSgprs: 26
; NumVgprs: 118
; ScratchSize: 0
; MemoryBound: 0
; FloatMode: 240
; IeeeMode: 1
; LDSByteSize: 6160 bytes/workgroup (compile time only)
; SGPRBlocks: 3
; VGPRBlocks: 14
; NumSGPRsForWavesPerEU: 26
; NumVGPRsForWavesPerEU: 118
; Occupancy: 12
; WaveLimiterHint : 1
; COMPUTE_PGM_RSRC2:SCRATCH_EN: 0
; COMPUTE_PGM_RSRC2:USER_SGPR: 2
; COMPUTE_PGM_RSRC2:TRAP_HANDLER: 0
; COMPUTE_PGM_RSRC2:TGID_X_EN: 1
; COMPUTE_PGM_RSRC2:TGID_Y_EN: 0
; COMPUTE_PGM_RSRC2:TGID_Z_EN: 0
; COMPUTE_PGM_RSRC2:TIDIG_COMP_CNT: 0
	.text
	.p2alignl 7, 3214868480
	.fill 96, 4, 3214868480
	.type	__hip_cuid_c1b053893ded125f,@object ; @__hip_cuid_c1b053893ded125f
	.section	.bss,"aw",@nobits
	.globl	__hip_cuid_c1b053893ded125f
__hip_cuid_c1b053893ded125f:
	.byte	0                               ; 0x0
	.size	__hip_cuid_c1b053893ded125f, 1

	.ident	"AMD clang version 19.0.0git (https://github.com/RadeonOpenCompute/llvm-project roc-6.4.0 25133 c7fe45cf4b819c5991fe208aaa96edf142730f1d)"
	.section	".note.GNU-stack","",@progbits
	.addrsig
	.addrsig_sym __hip_cuid_c1b053893ded125f
	.amdgpu_metadata
---
amdhsa.kernels:
  - .args:
      - .actual_access:  read_only
        .address_space:  global
        .offset:         0
        .size:           8
        .value_kind:     global_buffer
      - .actual_access:  read_only
        .address_space:  global
        .offset:         8
        .size:           8
        .value_kind:     global_buffer
      - .actual_access:  read_only
        .address_space:  global
        .offset:         16
        .size:           8
        .value_kind:     global_buffer
      - .actual_access:  read_only
        .address_space:  global
        .offset:         24
        .size:           8
        .value_kind:     global_buffer
      - .actual_access:  read_only
        .address_space:  global
        .offset:         32
        .size:           8
        .value_kind:     global_buffer
      - .offset:         40
        .size:           8
        .value_kind:     by_value
      - .address_space:  global
        .offset:         48
        .size:           8
        .value_kind:     global_buffer
      - .address_space:  global
        .offset:         56
        .size:           8
        .value_kind:     global_buffer
      - .address_space:  global
        .offset:         64
        .size:           8
        .value_kind:     global_buffer
      - .address_space:  global
        .offset:         72
        .size:           8
        .value_kind:     global_buffer
      - .offset:         80
        .size:           4
        .value_kind:     by_value
      - .address_space:  global
        .offset:         88
        .size:           8
        .value_kind:     global_buffer
      - .address_space:  global
        .offset:         96
        .size:           8
        .value_kind:     global_buffer
    .group_segment_fixed_size: 6160
    .kernarg_segment_align: 8
    .kernarg_segment_size: 104
    .language:       OpenCL C
    .language_version:
      - 2
      - 0
    .max_flat_workgroup_size: 220
    .name:           bluestein_single_back_len770_dim1_half_op_CI_CI
    .private_segment_fixed_size: 0
    .sgpr_count:     26
    .sgpr_spill_count: 0
    .symbol:         bluestein_single_back_len770_dim1_half_op_CI_CI.kd
    .uniform_work_group_size: 1
    .uses_dynamic_stack: false
    .vgpr_count:     118
    .vgpr_spill_count: 0
    .wavefront_size: 32
    .workgroup_processor_mode: 1
amdhsa.target:   amdgcn-amd-amdhsa--gfx1201
amdhsa.version:
  - 1
  - 2
...

	.end_amdgpu_metadata
